;; amdgpu-corpus repo=ROCm/Tensile kind=harvested arch=n/a opt=n/a

/******************************************/
/* Function Prefix                        */
/******************************************/



/******************************************/
/* Begin Kernel                           */
/******************************************/

// Component.Signature.SignatureDefault
.amdgcn_target "amdgcn-amd-amdhsa--gfx942"
.text
.protected Cijk_Alik_Bljk_B8B8S_BH_MT256x256x64_MI32x32x16x1_SN_1LDSB1_APM1_AF0EM16_AF1EM16_AMAS0_ASE_ASGT3512_ASLT_ASM_ASAE01_ASCE01_ASEM128_BL1_BS1_CLR0_DTVA0_DTVB0_ETSP_EPS1_ELFLR0_EMLL0_FSSC10_FL0_GLVWA16_GLVWB16_GRCGA1_GRPM1_GRVW16_GSU1_GSUASB_GLS0_IU1_K1_LBSPPA128_LBSPPB128_LPA16_LPB16_LRVW16_LWPMn1_MIAV0_MKFGSU256_NTA0_NTB0_NTC3_NTD3_NEPBS0_NLCA1_NLCB1_ONLL1_PGR2_PLR5_PKA0_SIA3_SLW1_SS1_SU0_SUM0_SUS0_SPO1_SRVW0_SSO4_SVW1_TSGRA0_TSGRB0_TT8_64_TLDS1_UMLDSA1_UMLDSB1_USFGROn1_VAW1_VSn1_VW1_VWB1_VFLRP0_WSGRA0_WSGRB0_WG32_8_1_WGM32
.globl Cijk_Alik_Bljk_B8B8S_BH_MT256x256x64_MI32x32x16x1_SN_1LDSB1_APM1_AF0EM16_AF1EM16_AMAS0_ASE_ASGT3512_ASLT_ASM_ASAE01_ASCE01_ASEM128_BL1_BS1_CLR0_DTVA0_DTVB0_ETSP_EPS1_ELFLR0_EMLL0_FSSC10_FL0_GLVWA16_GLVWB16_GRCGA1_GRPM1_GRVW16_GSU1_GSUASB_GLS0_IU1_K1_LBSPPA128_LBSPPB128_LPA16_LPB16_LRVW16_LWPMn1_MIAV0_MKFGSU256_NTA0_NTB0_NTC3_NTD3_NEPBS0_NLCA1_NLCB1_ONLL1_PGR2_PLR5_PKA0_SIA3_SLW1_SS1_SU0_SUM0_SUS0_SPO1_SRVW0_SSO4_SVW1_TSGRA0_TSGRB0_TT8_64_TLDS1_UMLDSA1_UMLDSB1_USFGROn1_VAW1_VSn1_VW1_VWB1_VFLRP0_WSGRA0_WSGRB0_WG32_8_1_WGM32
.p2align 8
.type Cijk_Alik_Bljk_B8B8S_BH_MT256x256x64_MI32x32x16x1_SN_1LDSB1_APM1_AF0EM16_AF1EM16_AMAS0_ASE_ASGT3512_ASLT_ASM_ASAE01_ASCE01_ASEM128_BL1_BS1_CLR0_DTVA0_DTVB0_ETSP_EPS1_ELFLR0_EMLL0_FSSC10_FL0_GLVWA16_GLVWB16_GRCGA1_GRPM1_GRVW16_GSU1_GSUASB_GLS0_IU1_K1_LBSPPA128_LBSPPB128_LPA16_LPB16_LRVW16_LWPMn1_MIAV0_MKFGSU256_NTA0_NTB0_NTC3_NTD3_NEPBS0_NLCA1_NLCB1_ONLL1_PGR2_PLR5_PKA0_SIA3_SLW1_SS1_SU0_SUM0_SUS0_SPO1_SRVW0_SSO4_SVW1_TSGRA0_TSGRB0_TT8_64_TLDS1_UMLDSA1_UMLDSB1_USFGROn1_VAW1_VSn1_VW1_VWB1_VFLRP0_WSGRA0_WSGRB0_WG32_8_1_WGM32,@function
.section .rodata,#alloc
.p2align 6
.amdhsa_kernel Cijk_Alik_Bljk_B8B8S_BH_MT256x256x64_MI32x32x16x1_SN_1LDSB1_APM1_AF0EM16_AF1EM16_AMAS0_ASE_ASGT3512_ASLT_ASM_ASAE01_ASCE01_ASEM128_BL1_BS1_CLR0_DTVA0_DTVB0_ETSP_EPS1_ELFLR0_EMLL0_FSSC10_FL0_GLVWA16_GLVWB16_GRCGA1_GRPM1_GRVW16_GSU1_GSUASB_GLS0_IU1_K1_LBSPPA128_LBSPPB128_LPA16_LPB16_LRVW16_LWPMn1_MIAV0_MKFGSU256_NTA0_NTB0_NTC3_NTD3_NEPBS0_NLCA1_NLCB1_ONLL1_PGR2_PLR5_PKA0_SIA3_SLW1_SS1_SU0_SUM0_SUS0_SPO1_SRVW0_SSO4_SVW1_TSGRA0_TSGRB0_TT8_64_TLDS1_UMLDSA1_UMLDSB1_USFGROn1_VAW1_VSn1_VW1_VWB1_VFLRP0_WSGRA0_WSGRB0_WG32_8_1_WGM32
  .amdhsa_user_sgpr_kernarg_segment_ptr 1
  .amdhsa_user_sgpr_kernarg_preload_offset 0
  .amdhsa_user_sgpr_kernarg_preload_length 0
  .amdhsa_user_sgpr_count 2
  .amdhsa_accum_offset 256 // accvgpr offset
  .amdhsa_next_free_vgpr 512 // vgprs
  .amdhsa_next_free_sgpr 66 // sgprs
  .amdhsa_group_segment_fixed_size 36864 // lds bytes
  .amdhsa_private_segment_fixed_size 0
  .amdhsa_system_sgpr_workgroup_id_x 1
  .amdhsa_system_sgpr_workgroup_id_y 1
  .amdhsa_system_sgpr_workgroup_id_z 1
  .amdhsa_system_vgpr_workitem_id 0
  .amdhsa_float_denorm_mode_32 3
  .amdhsa_float_denorm_mode_16_64 3
.end_amdhsa_kernel
.text

/******************************************/
/* Optimizations and Config:              */
/******************************************/
/* ThreadTile= 128 x 2 */
/* SubGroup= 2 x 128 */
/* VectorWidthA=1 */
/* VectorWidthB=1 */
/* GlobalLoadVectorWidthA=16, GlobalLoadVectorWidthB=16 */
/* DirectToLdsA=False */
/* DirectToLdsB=False */
/* UseSgprForGRO=1 */
.amdgpu_metadata
---
amdhsa.version:
  - 1
  - 1
amdhsa.target: amdgcn-amd-amdhsa--gfx942
amdhsa.kernels:
  - .name: Cijk_Alik_Bljk_B8B8S_BH_MT256x256x64_MI32x32x16x1_SN_1LDSB1_APM1_AF0EM16_AF1EM16_AMAS0_ASE_ASGT3512_ASLT_ASM_ASAE01_ASCE01_ASEM128_BL1_BS1_CLR0_DTVA0_DTVB0_ETSP_EPS1_ELFLR0_EMLL0_FSSC10_FL0_GLVWA16_GLVWB16_GRCGA1_GRPM1_GRVW16_GSU1_GSUASB_GLS0_IU1_K1_LBSPPA128_LBSPPB128_LPA16_LPB16_LRVW16_LWPMn1_MIAV0_MKFGSU256_NTA0_NTB0_NTC3_NTD3_NEPBS0_NLCA1_NLCB1_ONLL1_PGR2_PLR5_PKA0_SIA3_SLW1_SS1_SU0_SUM0_SUS0_SPO1_SRVW0_SSO4_SVW1_TSGRA0_TSGRB0_TT8_64_TLDS1_UMLDSA1_UMLDSB1_USFGROn1_VAW1_VSn1_VW1_VWB1_VFLRP0_WSGRA0_WSGRB0_WG32_8_1_WGM32
    .symbol: 'Cijk_Alik_Bljk_B8B8S_BH_MT256x256x64_MI32x32x16x1_SN_1LDSB1_APM1_AF0EM16_AF1EM16_AMAS0_ASE_ASGT3512_ASLT_ASM_ASAE01_ASCE01_ASEM128_BL1_BS1_CLR0_DTVA0_DTVB0_ETSP_EPS1_ELFLR0_EMLL0_FSSC10_FL0_GLVWA16_GLVWB16_GRCGA1_GRPM1_GRVW16_GSU1_GSUASB_GLS0_IU1_K1_LBSPPA128_LBSPPB128_LPA16_LPB16_LRVW16_LWPMn1_MIAV0_MKFGSU256_NTA0_NTB0_NTC3_NTD3_NEPBS0_NLCA1_NLCB1_ONLL1_PGR2_PLR5_PKA0_SIA3_SLW1_SS1_SU0_SUM0_SUS0_SPO1_SRVW0_SSO4_SVW1_TSGRA0_TSGRB0_TT8_64_TLDS1_UMLDSA1_UMLDSB1_USFGROn1_VAW1_VSn1_VW1_VWB1_VFLRP0_WSGRA0_WSGRB0_WG32_8_1_WGM32.kd'
    .language:                   OpenCL C
    .language_version:
      - 2
      - 0
    .args:
      - .name:            Tensor2dSizeA
        .size:            8
        .offset:          0
        .value_kind:      by_value
        .value_type:      u64
      - .name:            Tensor2dSizeB
        .size:            8
        .offset:          8
        .value_kind:      by_value
        .value_type:      u64
      - .name:            AddressD
        .size:            8
        .offset:          16
        .value_kind:      by_value
        .value_type:      u64
      - .name:            AddressC
        .size:            8
        .offset:          24
        .value_kind:      by_value
        .value_type:      u64
      - .name:            AddressA
        .size:            8
        .offset:          32
        .value_kind:      by_value
        .value_type:      u64
      - .name:            AddressB
        .size:            8
        .offset:          40
        .value_kind:      by_value
        .value_type:      u64
      - .name:            Alpha
        .size:            4
        .offset:          48
        .value_kind:      by_value
        .value_type:      u32
      - .name:            Beta
        .size:            4
        .offset:          52
        .value_kind:      by_value
        .value_type:      u32
      - .name:            StridesD
        .size:            8
        .offset:          56
        .value_kind:      by_value
        .value_type:      u64
      - .name:            StridesC
        .size:            8
        .offset:          64
        .value_kind:      by_value
        .value_type:      u64
      - .name:            StridesA
        .size:            8
        .offset:          72
        .value_kind:      by_value
        .value_type:      u64
      - .name:            StridesB
        .size:            8
        .offset:          80
        .value_kind:      by_value
        .value_type:      u64
      - .name:            SizesFree
        .size:            12
        .offset:          88
        .value_kind:      by_value
        .value_type:      u96
      - .name:            SizesSum
        .size:            4
        .offset:          100
        .value_kind:      by_value
        .value_type:      u32
      - .name:            NumWorkGroups0
        .size:            4
        .offset:          104
        .value_kind:      by_value
        .value_type:      u32
      - .name:            NumWorkGroups1
        .size:            4
        .offset:          108
        .value_kind:      by_value
        .value_type:      u32
      - .name:            NumFullBlocks
        .size:            4
        .offset:          112
        .value_kind:      by_value
        .value_type:      u32
      - .name:            WgmRemainder1
        .size:            4
        .offset:          116
        .value_kind:      by_value
        .value_type:      u32
      - .name:            MagicNumberWgmRemainder1
        .size:            4
        .offset:          120
        .value_kind:      by_value
        .value_type:      u32
    .group_segment_fixed_size:   36864
    .kernarg_segment_align:      8
    .kernarg_segment_size:       128
    .max_flat_workgroup_size:    256
    .private_segment_fixed_size: 0
    .sgpr_count:                 66
    .sgpr_spill_count:           0
    .vgpr_count:                 256
    .vgpr_spill_count:           0
    .wavefront_size:             64
...
.end_amdgpu_metadata
Cijk_Alik_Bljk_B8B8S_BH_MT256x256x64_MI32x32x16x1_SN_1LDSB1_APM1_AF0EM16_AF1EM16_AMAS0_ASE_ASGT3512_ASLT_ASM_ASAE01_ASCE01_ASEM128_BL1_BS1_CLR0_DTVA0_DTVB0_ETSP_EPS1_ELFLR0_EMLL0_FSSC10_FL0_GLVWA16_GLVWB16_GRCGA1_GRPM1_GRVW16_GSU1_GSUASB_GLS0_IU1_K1_LBSPPA128_LBSPPB128_LPA16_LPB16_LRVW16_LWPMn1_MIAV0_MKFGSU256_NTA0_NTB0_NTC3_NTD3_NEPBS0_NLCA1_NLCB1_ONLL1_PGR2_PLR5_PKA0_SIA3_SLW1_SS1_SU0_SUM0_SUS0_SPO1_SRVW0_SSO4_SVW1_TSGRA0_TSGRB0_TT8_64_TLDS1_UMLDSA1_UMLDSB1_USFGROn1_VAW1_VSn1_VW1_VWB1_VFLRP0_WSGRA0_WSGRB0_WG32_8_1_WGM32:

/******************************************/
/* Asm syntax workarounds                 */
/******************************************/
.macro _v_add_co_u32 dst:req, cc:req, src0:req, src1:req, dpp=
   v_add_co_u32 \dst, \cc, \src0, \src1 \dpp
.endm

.macro _v_add_u32 dst:req, src0:req, src1:req, dpp=
   v_add_u32 \dst, \src0, \src1 \dpp
.endm

.macro _v_add_i32 dst:req, src0:req, src1:req, dpp=
   v_add_i32 \dst, \src0, \src1 \dpp
.endm

.macro _v_addc_co_u32 dst:req, ccOut:req, src0:req, ccIn:req, src1:req, dpp=
   v_addc_co_u32 \dst, \ccOut, \src0, \ccIn, \src1 \dpp
.endm

.macro _v_sub_co_u32 dst:req, cc:req, src0:req, src1:req, dpp=
   v_sub_co_u32 \dst, \cc, \src0, \src1 \dpp
.endm

.macro _v_sub_u32 dst:req, src0:req, src1:req, dpp=
   v_sub_u32 \dst, \src0, \src1 \dpp
.endm

.macro _v_sub_i32 dst:req, src0:req, src1:req, dpp=
   v_sub_i32 \dst, \src0, \src1 \dpp
.endm

.macro _v_add_lshl_u32 dst:req, src0:req, src1:req, shiftCnt:req
    v_add_lshl_u32 \dst, \src0, \src1, \shiftCnt
.endm

.macro _v_lshl_add_u32 dst:req, src0:req, src1:req, shiftCnt:req
    v_lshl_add_u32 \dst, \src0, \src1, \shiftCnt
.endm

.macro _v_lshl_or_b32 dst:req, src0:req, shiftCnt:req, src1:req
    v_lshl_or_b32 \dst, \src0, \shiftCnt, \src1
.endm

.macro _v_dot2acc_f32_f16 dst, src0, src1
v_dot2c_f32_f16 \dst, \src0, \src1
.endm

.macro _v_cmpx_lt_i16 dst, src0, src1=
   v_cmpx_lt_i16 \dst, \src0, \src1 
.endm

.macro _v_cmpx_lt_i32 dst, src0, src1=
   v_cmpx_lt_i32 \dst, \src0, \src1 
.endm

.macro _v_cmpx_lt_i64 dst, src0, src1=
   v_cmpx_lt_i64 \dst, \src0, \src1 
.endm

.macro _v_cmpx_lt_u16 dst, src0, src1=
   v_cmpx_lt_u16 \dst, \src0, \src1 
.endm

.macro _v_cmpx_lt_u32 dst, src0, src1=
   v_cmpx_lt_u32 \dst, \src0, \src1 
.endm

.macro _v_cmpx_lt_u64 dst, src0, src1=
   v_cmpx_lt_u64 \dst, \src0, \src1 
.endm

.macro _v_cmpx_eq_i16 dst, src0, src1=
   v_cmpx_eq_i16 \dst, \src0, \src1 
.endm

.macro _v_cmpx_eq_i32 dst, src0, src1=
   v_cmpx_eq_i32 \dst, \src0, \src1 
.endm

.macro _v_cmpx_eq_i64 dst, src0, src1=
   v_cmpx_eq_i64 \dst, \src0, \src1 
.endm

.macro _v_cmpx_eq_u16 dst, src0, src1=
   v_cmpx_eq_u16 \dst, \src0, \src1 
.endm

.macro _v_cmpx_eq_u32 dst, src0, src1=
   v_cmpx_eq_u32 \dst, \src0, \src1 
.endm

.macro _v_cmpx_eq_u64 dst, src0, src1=
   v_cmpx_eq_u64 \dst, \src0, \src1 
.endm

.macro _v_cmpx_le_i16 dst, src0, src1=
   v_cmpx_le_i16 \dst, \src0, \src1 
.endm

.macro _v_cmpx_le_i32 dst, src0, src1=
   v_cmpx_le_i32 \dst, \src0, \src1 
.endm

.macro _v_cmpx_le_i64 dst, src0, src1=
   v_cmpx_le_i64 \dst, \src0, \src1 
.endm

.macro _v_cmpx_le_u16 dst, src0, src1=
   v_cmpx_le_u16 \dst, \src0, \src1 
.endm

.macro _v_cmpx_le_u32 dst, src0, src1=
   v_cmpx_le_u32 \dst, \src0, \src1 
.endm

.macro _v_cmpx_le_u64 dst, src0, src1=
   v_cmpx_le_u64 \dst, \src0, \src1 
.endm

.macro _v_cmpx_gt_i16 dst, src0, src1=
   v_cmpx_gt_i16 \dst, \src0, \src1 
.endm

.macro _v_cmpx_gt_i32 dst, src0, src1=
   v_cmpx_gt_i32 \dst, \src0, \src1 
.endm

.macro _v_cmpx_gt_i64 dst, src0, src1=
   v_cmpx_gt_i64 \dst, \src0, \src1 
.endm

.macro _v_cmpx_gt_u16 dst, src0, src1=
   v_cmpx_gt_u16 \dst, \src0, \src1 
.endm

.macro _v_cmpx_gt_u32 dst, src0, src1=
   v_cmpx_gt_u32 \dst, \src0, \src1 
.endm

.macro _v_cmpx_gt_u64 dst, src0, src1=
   v_cmpx_gt_u64 \dst, \src0, \src1 
.endm

.macro _v_cmpx_ne_i16 dst, src0, src1=
   v_cmpx_ne_i16 \dst, \src0, \src1 
.endm

.macro _v_cmpx_ne_i32 dst, src0, src1=
   v_cmpx_ne_i32 \dst, \src0, \src1 
.endm

.macro _v_cmpx_ne_i64 dst, src0, src1=
   v_cmpx_ne_i64 \dst, \src0, \src1 
.endm

.macro _v_cmpx_ne_u16 dst, src0, src1=
   v_cmpx_ne_u16 \dst, \src0, \src1 
.endm

.macro _v_cmpx_ne_u32 dst, src0, src1=
   v_cmpx_ne_u32 \dst, \src0, \src1 
.endm

.macro _v_cmpx_ne_u64 dst, src0, src1=
   v_cmpx_ne_u64 \dst, \src0, \src1 
.endm

.macro _v_cmpx_lg_i16 dst, src0, src1=
   v_cmpx_lg_i16 \dst, \src0, \src1 
.endm

.macro _v_cmpx_lg_i32 dst, src0, src1=
   v_cmpx_lg_i32 \dst, \src0, \src1 
.endm

.macro _v_cmpx_lg_i64 dst, src0, src1=
   v_cmpx_lg_i64 \dst, \src0, \src1 
.endm

.macro _v_cmpx_lg_u16 dst, src0, src1=
   v_cmpx_lg_u16 \dst, \src0, \src1 
.endm

.macro _v_cmpx_lg_u32 dst, src0, src1=
   v_cmpx_lg_u32 \dst, \src0, \src1 
.endm

.macro _v_cmpx_lg_u64 dst, src0, src1=
   v_cmpx_lg_u64 \dst, \src0, \src1 
.endm

.macro _v_cmpx_ge_i16 dst, src0, src1=
   v_cmpx_ge_i16 \dst, \src0, \src1 
.endm

.macro _v_cmpx_ge_i32 dst, src0, src1=
   v_cmpx_ge_i32 \dst, \src0, \src1 
.endm

.macro _v_cmpx_ge_i64 dst, src0, src1=
   v_cmpx_ge_i64 \dst, \src0, \src1 
.endm

.macro _v_cmpx_ge_u16 dst, src0, src1=
   v_cmpx_ge_u16 \dst, \src0, \src1 
.endm

.macro _v_cmpx_ge_u32 dst, src0, src1=
   v_cmpx_ge_u32 \dst, \src0, \src1 
.endm

.macro _v_cmpx_ge_u64 dst, src0, src1=
   v_cmpx_ge_u64 \dst, \src0, \src1 
.endm

.macro _v_cmpx_o_i16 dst, src0, src1=
   v_cmpx_o_i16 \dst, \src0, \src1 
.endm

.macro _v_cmpx_o_i32 dst, src0, src1=
   v_cmpx_o_i32 \dst, \src0, \src1 
.endm

.macro _v_cmpx_o_i64 dst, src0, src1=
   v_cmpx_o_i64 \dst, \src0, \src1 
.endm

.macro _v_cmpx_o_u16 dst, src0, src1=
   v_cmpx_o_u16 \dst, \src0, \src1 
.endm

.macro _v_cmpx_o_u32 dst, src0, src1=
   v_cmpx_o_u32 \dst, \src0, \src1 
.endm

.macro _v_cmpx_o_u64 dst, src0, src1=
   v_cmpx_o_u64 \dst, \src0, \src1 
.endm

.macro _v_cmpx_u_i16 dst, src0, src1=
   v_cmpx_u_i16 \dst, \src0, \src1 
.endm

.macro _v_cmpx_u_i32 dst, src0, src1=
   v_cmpx_u_i32 \dst, \src0, \src1 
.endm

.macro _v_cmpx_u_i64 dst, src0, src1=
   v_cmpx_u_i64 \dst, \src0, \src1 
.endm

.macro _v_cmpx_u_u16 dst, src0, src1=
   v_cmpx_u_u16 \dst, \src0, \src1 
.endm

.macro _v_cmpx_u_u32 dst, src0, src1=
   v_cmpx_u_u32 \dst, \src0, \src1 
.endm

.macro _v_cmpx_u_u64 dst, src0, src1=
   v_cmpx_u_u64 \dst, \src0, \src1 
.endm
.macro _v_mac_f32 c:req, a:req, b:req
    v_fmac_f32 \c, \a, \b
.endmacro

/* scale global load macros */
.macro _s_load_b32 dst base offset
    s_load_dword \dst \base \offset
.endm

.macro _s_load_b64 dst base offset
    s_load_dwordx2 \dst \base \offset
.endm

.macro _s_load_b128 dst base offset
    s_load_dwordx4 \dst \base \offset
.endm

.macro _s_load_b256 dst base offset
    s_load_dwordx8 \dst \base \offset
.endm

.macro _s_load_b512 dst base offset
    s_load_dwordx16 \dst \base \offset
.endm


/* ds operation macros */
.macro _ds_load_u8 dst src offset
    ds_read_u8 \dst \src \offset
.endm

.macro _ds_load_u8_d16_hi dst src offset
    ds_read_u8_d16_hi \dst \src \offset
.endm

.macro _ds_load_u16 dst src offset
    ds_read_u16 \dst \src \offset
.endm

.macro _ds_load_u16_d16_hi dst src offset
    ds_read_u16_d16_hi \dst \src \offset
.endm

.macro _ds_load_b32 dst src offset
    ds_read_b32 \dst \src \offset
.endm

.macro _ds_load_b64 dst src offset
    ds_read_b64 \dst \src \offset
.endm

.macro _ds_load_b128 dst src offset
    ds_read_b128 \dst \src \offset
.endm

.macro _ds_store_b8 dst src offset
    ds_write_b8 \dst \src \offset
.endm

.macro _ds_store_b8_d16_hi dst src offset
    ds_write_b8_d16_hi \dst \src \offset
.endm

.macro _ds_store_b16 dst src offset
    ds_write_b16 \dst \src \offset
.endm

.macro _ds_store_b16_d16_hi dst src offset
    ds_write_b16_d16_hi \dst \src \offset
.endm

.macro _ds_store_b32 dst src offset
    ds_write_b32 \dst \src \offset
.endm

.macro _ds_store_b64 dst src offset
    ds_write_b64 \dst \src \offset
.endm

.macro _ds_store_b128 dst src offset
    ds_write_b128 \dst \src \offset
.endm

.macro _ds_load2_b32 dst src offset1 offset2
    ds_read2_b32 \dst \src \offset1 \offset2
.endm

.macro _ds_load2_b64 dst src offset1 offset2
    ds_read2_b64 \dst \src \offset1 \offset2
.endm

.macro _ds_store2_b32 dst src offset1 offset2
    ds_write2_b32 \dst \src \offset1 \offset2
.endm

.macro _ds_store2_b64 dst src offset1 offset2
    ds_write2_b64 \dst \src \offset1 \offset2
.endm


/* buffer memory operation macros */
.macro _buffer_load_b32 dst voffset base soffset offen ioffset md0 md1 md2
    buffer_load_dword \dst \voffset \base \soffset \offen \ioffset \md0 \md1 \md2
.endm

.macro _buffer_load_b64 dst voffset base soffset offen ioffset md0 md1 md2
    buffer_load_dwordx2 \dst \voffset \base \soffset \offen \ioffset \md0 \md1 \md2
.endm

.macro _buffer_load_b96 dst voffset base soffset offen ioffset md0 md1 md2
    buffer_load_dwordx3 \dst \voffset \base \soffset \offen \ioffset \md0 \md1 \md2
.endm

.macro _buffer_load_b128 dst voffset base soffset offen ioffset md0 md1 md2
    buffer_load_dwordx4 \dst \voffset \base \soffset \offen \ioffset \md0 \md1 \md2
.endm

.macro _buffer_load_d16_b16 dst voffset base soffset offen ioffset md0 md1 md2
    buffer_load_short_d16 \dst \voffset \base \soffset \offen \ioffset \md0 \md1 \md2
.endm

.macro _buffer_load_d16_hi_b16 dst voffset base soffset offen ioffset md0 md1 md2
    buffer_load_short_d16_hi \dst \voffset \base \soffset \offen \ioffset \md0 \md1 \md2
.endm

.macro _buffer_load_d16_u8 dst voffset base soffset offen ioffset md0 md1 md2
    buffer_load_ubyte_d16 \dst \voffset \base \soffset \offen \ioffset \md0 \md1 \md2
.endm

.macro _buffer_load_d16_hi_u8 dst voffset base soffset offen ioffset md0 md1 md2
    buffer_load_ubyte_d16_hi \dst \voffset \base \soffset \offen \ioffset \md0 \md1 \md2
.endm

.macro _buffer_load_u16 dst voffset base soffset offen ioffset md0 md1 md2
    buffer_load_ushort \dst \voffset \base \soffset \offen \ioffset \md0 \md1 \md2
.endm

.macro _buffer_load_b32_dtl voffset base soffset offen ioffset md0 md1 md2
    buffer_load_dword \voffset \base \soffset \offen \ioffset \md0 \md1 \md2
.endm

.macro _buffer_load_b64_dtl voffset base soffset offen ioffset md0 md1 md2
    buffer_load_dwordx2 \voffset \base \soffset \offen \ioffset \md0 \md1 \md2
.endm

.macro _buffer_load_b128_dtl voffset base soffset offen ioffset md0 md1 md2
    buffer_load_dwordx4 \voffset \base \soffset \offen \ioffset \md0 \md1 \md2
.endm

.macro _buffer_load_u16_dtl voffset base soffset offen ioffset md0 md1 md2
    buffer_load_ushort \voffset \base \soffset \offen \ioffset \md0 \md1 \md2
.endm

.macro _buffer_store_b32 src voffset base soffset offen ioffset md0 md1 md2
    buffer_store_dword \src \voffset \base \soffset \offen \ioffset \md0 \md1 \md2
.endm

.macro _buffer_store_b64 src voffset base soffset offen ioffset md0 md1 md2
    buffer_store_dwordx2 \src \voffset \base \soffset \offen \ioffset \md0 \md1 \md2
.endm

.macro _buffer_store_b96 src voffset base soffset offen ioffset md0 md1 md2
    buffer_store_dwordx3 \src \voffset \base \soffset \offen \ioffset \md0 \md1 \md2
.endm

.macro _buffer_store_b128 src voffset base soffset offen ioffset md0 md1 md2
    buffer_store_dwordx4 \src \voffset \base \soffset \offen \ioffset \md0 \md1 \md2
.endm

.macro _buffer_store_b16 src voffset base soffset offen ioffset md0 md1 md2
    buffer_store_short \src \voffset \base \soffset \offen \ioffset \md0 \md1 \md2
.endm

.macro _buffer_store_d16_hi_b16 src voffset base soffset offen ioffset md0 md1 md2
    buffer_store_short_d16_hi \src \voffset \base \soffset \offen \ioffset \md0 \md1 \md2
.endm

.macro _buffer_store_b8 src voffset base soffset offen ioffset md0 md1 md2
    buffer_store_byte \src \voffset \base \soffset \offen \ioffset \md0 \md1 \md2
.endm

.macro _buffer_store_d16_hi_b8 src voffset base soffset offen ioffset md0 md1 md2
    buffer_store_byte_d16_hi \src \voffset \base \soffset \offen \ioffset \md0 \md1 \md2
.endm

.macro _buffer_atomic_cmpswap_b32 dst voffset base soffset offen ioffset md0 md1 md2
    buffer_atomic_cmpswap \dst \voffset \base \soffset \offen \ioffset \md0 \md1 \md2
.endm

.macro _buffer_atomic_cmpswap_b64 dst voffset base soffset offen ioffset md0 md1 md2
    buffer_atomic_cmpswap_x2 \dst \voffset \base \soffset \offen \ioffset \md0 \md1 \md2
.endm


/* buffer memory operation macros */
.macro _global_load_b32 dst base src ioffset md0 md1 md2
    global_load_dword \dst \base \src \ioffset \md0 \md1 \md2
.endm

.macro _global_load_b64 dst base src ioffset md0 md1 md2
    global_load_dwordx2 \dst \base \src \ioffset \md0 \md1 \md2
.endm

.macro _global_load_b96 dst base src ioffset md0 md1 md2
    global_load_dwordx3 \dst \base \src \ioffset \md0 \md1 \md2
.endm

.macro _global_load_b128 dst base src ioffset md0 md1 md2
    global_load_dwordx4 \dst \base \src \ioffset \md0 \md1 \md2
.endm

.macro _global_load_d16_b16 dst base src ioffset md0 md1 md2
    global_load_short_d16 \dst \base \src \ioffset \md0 \md1 \md2
.endm

.macro _global_load_d16_hi_b16 dst base src ioffset md0 md1 md2
    global_load_short_d16_hi \dst \base \src \ioffset \md0 \md1 \md2
.endm

.macro _global_load_d16_u8 dst base src ioffset md0 md1 md2
    global_load_ubyte_d16 \dst \base \src \ioffset \md0 \md1 \md2
.endm

.macro _global_load_d16_hi_u8 dst base src ioffset md0 md1 md2
    global_load_ubyte_d16_hi \dst \base \src \ioffset \md0 \md1 \md2
.endm

.macro _global_load_u16 dst base src ioffset md0 md1 md2
    global_load_ushort \dst \base \src \ioffset \md0 \md1 \md2
.endm

.macro _global_store_b32 base src src2 md0 md1 md2
    global_store_dword \base \src \src2 \md0 \md1 \md2
.endm

.macro _global_store_b64 base src src2 md0 md1 md2
    global_store_dwordx2 \base \src \src2 \md0 \md1 \md2
.endm

.macro _global_store_b96 base src src2 md0 md1 md2
    global_store_dwordx3 \base \src \src2 \md0 \md1 \md2
.endm

.macro _global_store_b128 base src src2 md0 md1 md2
    global_store_dwordx4 \base \src \src2 \md0 \md1 \md2
.endm

.macro _global_store_d16_b16 base src src2 md0 md1 md2
    global_store_short \base \src \src2 \md0 \md1 \md2
.endm

.macro _global_store_d16_hi_b16 base src src2 md0 md1 md2
    global_store_short_d16_hi \base \src \src2 \md0 \md1 \md2
.endm

.macro _global_store_d16_u8 base src src2 md0 md1 md2
    global_store_ubyte_d16 \base \src \src2 \md0 \md1 \md2
.endm

.macro _global_store_d16_hi_u8 base src src2 md0 md1 md2
    global_store_ubyte_d16_hi \base \src \src2 \md0 \md1 \md2
.endm

.macro _global_store_u16 base src src2 md0 md1 md2
    global_store_ushort \base \src \src2 \md0 \md1 \md2
.endm

.macro _global_atomic_cmpswap_b32 tmp base data src ioffset md
    global_atomic_cmpswap \tmp \base \data \src \ioffset \md
.endm

.macro _global_atomic_cmpswap_b64 tmp base data src ioffset md
    global_atomic_cmpswap_x2 \tmp \base \data \src \ioffset \md
.endm


/******************************************/
/* Magic div and mod functions            */
/******************************************/
.macro V_MAGIC_DIV dstIdx:req, dividend:req, magicNumber:req, magicShift:req, magicA:req
    v_mul_hi_u32 v[\dstIdx+1], \dividend, \magicNumber
    v_mul_lo_u32 v[\dstIdx+0], \dividend, \magicA
    _v_add_u32 v[\dstIdx+0], v[\dstIdx+0], v[\dstIdx+1]
    v_lshrrev_b32 v[\dstIdx+0], \magicShift, v[\dstIdx+0]
.endm

/******************************************/
/* VGPR Assignments                       */
/******************************************/
/* ValuC range: [0-0), serializedStore enabled */
.set vgprValuC, 0
/* ValuA/B   Xn=PLR buffer idx,  In=InnerUnroll idx */
.set vgprValuA_X0_I0, 0
.set vgprValuA_X1_I0, 16
.set vgprValuA_X2_I0, 32
.set vgprValuA_X3_I0, 48
.set vgprG2LA, 84
.set vgprValuB_X0_I0, 64
.set vgprValuB_X1_I0, 68
.set vgprValuB_X2_I0, 72
.set vgprValuB_X3_I0, 76
.set vgprG2LB, 100
.set vgprLocalWriteAddrA, 80
.set vgprLocalWriteAddrB, 81
.set vgprGlobalReadOffsetA, 82
.set vgprGlobalReadOffsetB, 83
.set vgprLocalReadAddrA, 116
.set vgprLocalReadAddrB, 117
.set vgprSerial, 118
/* Num VGPR=256 */
/* Num AccVGPR=256 */

/******************************************/
/* SGPR Assignments                       */
/******************************************/
.set sgprKernArgAddress, 0 // (2)
.set sgprWorkGroup0, 2 // (1)
.set sgprWorkGroup1, 3 // (1)
.set sgprWorkGroup2, 4 // (1)
.set sgprLoopCounterL, 5 // (1)
.set sgprOrigLoopCounter, 6 // (1)
.set sgprSrdA, 8 // (4)
.set sgprSrdB, 12 // (4)
.set sgprSrdD, 16 // (4)
.set sgprSrdC, 20 // (4)
.set sgprTensor2dSizeA, 24 // (2)
.set sgprTensor2dSizeB, 26 // (2)
.set sgprAddressD, 28 // (2)
.set sgprAddressC, 30 // (2)
.set sgprAddressA, 32 // (2)
.set sgprAddressB, 34 // (2)
.set sgprAlpha, 36 // (1)
.set sgprBeta, 37 // (1)
.set sgprStridesD, 38 // (2)
.set sgprStridesC, 40 // (2)
.set sgprStridesA, 42 // (2)
.set sgprStridesB, 44 // (2)
.set sgprSizesFree, 46 // (3)
.set sgprSizesSum, 49 // (1)
.set sgprNumWorkGroups0, 50 // (1)
.set sgprNumWorkGroups1, 51 // (1)
.set sgprNumFullBlocks, 52 // (1)
.set sgprWgmRemainder1, 53 // (1)
.set sgprMagicNumberWgmRemainder1, 54 // (1)
.set sgprShadowLimitA, 0 // (2)
.set sgprShadowLimitB, 28 // (2)
.set sgprGlobalReadIncsA, 7 // (1)
.set sgprGlobalReadIncsB, 30 // (1)
.set sgprScalarGlobalReadOffsetA, 31 // (3)
.set sgprScalarGlobalReadOffsetB, 58 // (3)
/* max SGPR=66 */

/* Size Assignments */
.set sgprSizeI, sgprSizesFree+0
.set sgprSizeJ, sgprSizesFree+1
.set sgprSizeK, sgprSizesFree+2
.set sgprSizeL, sgprSizesSum+0

/* Stride Assignments */
.set constStrideD0I, 1
.set sgprStrideD1J, sgprStridesD+0
.set sgprStrideDK, sgprStridesD+1
.set constStrideC0I, 1
.set sgprStrideC1J, sgprStridesC+0
.set sgprStrideCK, sgprStridesC+1
.set constStrideAL, 1
.set sgprStrideA0I, sgprStridesA+0
.set sgprStrideAK, sgprStridesA+1
.set constStrideBL, 1
.set sgprStrideB1J, sgprStridesB+0
.set sgprStrideBK, sgprStridesB+1

.set MT0, 256
.set MT1, 256
.set DepthU, 64
.set GSU, 1
.set BpeA, 1
.set BpeALog2, 0
.set BpeB, 1
.set BpeBLog2, 0
/* Number of elements to shift-left SRD */
.set SrdShiftLeftA, 16
.set SrdShiftLeftB, 16
/* 2GB limit - set offsets to -1 to exceed this and clamp */
.set BufferLimitA, 0xffffffff
.set BufferLimitB, 0xffffffff
.set BufferOOB, 0xfffff000

/******************************************/
/* Bits 127:96 of SRD.                    */
/* hex: 0x00020000                        */
/* dst_sel_x (3b): 0                      */
/* dst_sel_y (3b): 0                      */
/* dst_sel_z (3b): 0                      */
/* dst_sel_w (3b): 0                      */
/* num_format (3b): 0                     */
/* data_format (4b): 4                    */
/* user_vm_enable (1b): 0                 */
/* user_vm_mode (1b): 0                   */
/* index_stride (2b): 0                   */
/* add_tid_enable (1b): 0                 */
/* _unusedA (3b): 0                       */
/* nv (1b): 0                             */
/* _unusedB (2b): 0                       */
/* type (2b): 0                           */
/******************************************/
.set Srd127_96, 0x00020000

/* Global Offset A */
.macro GLOBAL_OFFSET_A vgprAddr:req vgprOffsetL:req vgprOffset0I:req vgprTmp:req
v_mul_lo_u32 v[\vgprTmp+0], s[sgprStrideA0I], v[\vgprOffset0I] // mul d1 lower
_v_add_co_u32 v[\vgprAddr+0], vcc, v[\vgprOffsetL], v[\vgprTmp+0] // accumulate K lower
_v_add_u32 v[\vgprAddr+0], 0x10, v[\vgprAddr+0]    // add prepad for pointer shift
                                                   // offset *= bytes/element (multiplier is 1, do nothing)
.endm

/* Global Offset B */
.macro GLOBAL_OFFSET_B vgprAddr:req vgprOffsetL:req vgprOffset1J:req vgprTmp:req
v_mul_lo_u32 v[\vgprTmp+0], s[sgprStrideB1J], v[\vgprOffset1J] // mul d1 lower
_v_add_co_u32 v[\vgprAddr+0], vcc, v[\vgprOffsetL], v[\vgprTmp+0] // accumulate K lower
_v_add_u32 v[\vgprAddr+0], 0x10, v[\vgprAddr+0]    // add prepad for pointer shift
                                                   // offset *= bytes/element (multiplier is 1, do nothing)
.endm

/******************************************/
/* Dynamic Scalar Divide: vQuotient=vDividend/vDivisor; vRemainder=vDividend%vDivisor; */
/******************************************/
.macro DYNAMIC_VECTOR_DIVIDE vQuotient vRemainder vDividend vDivisor vTmp0 vTmp1 sTmp
v_cvt_f32_u32 v[\vQuotient], v[\vDivisor]          // 
v_rcp_f32 v[\vQuotient], v[\vQuotient]             // 
v_mul_f32 v[\vQuotient], 0x4f800000, v[\vQuotient] // 
v_cvt_u32_f32 v[\vQuotient], v[\vQuotient]         // 
v_mul_lo_u32 v[\vRemainder], v[\vDivisor], v[\vQuotient] // 
v_mul_hi_u32 v[\vTmp0], v[\vDivisor], v[\vQuotient] // 
_v_sub_co_u32 v[\vTmp1], vcc, 0x0, v[\vRemainder]  // 
v_cmp_ne_i32 s[\sTmp:\sTmp+1], 0x0, v[\vTmp0]      // 
v_cndmask_b32 v[\vRemainder], v[\vTmp1], v[\vRemainder], s[\sTmp:\sTmp+1] // 
v_mul_hi_u32 v[\vRemainder], v[\vRemainder], v[\vQuotient] // 
_v_sub_co_u32 v[\vTmp0], vcc, v[\vQuotient], v[\vRemainder] // 
_v_add_co_u32 v[\vQuotient], vcc, v[\vQuotient], v[\vRemainder] // 
v_cndmask_b32 v[\vQuotient], v[\vQuotient], v[\vTmp0], s[\sTmp:\sTmp+1] // 
v_mul_hi_u32 v[\vQuotient], v[\vQuotient], v[\vDividend] // 
v_mul_lo_u32 v[\vRemainder], v[\vQuotient], v[\vDivisor] // 
_v_sub_co_u32 v[\vTmp0], vcc, v[\vDividend], v[\vRemainder] // 
v_cmp_ge_u32 s[\sTmp:\sTmp+1], v[\vDividend], v[\vRemainder] // 
_v_add_co_u32 v[\vRemainder], vcc, 0x1, v[\vQuotient] // 
_v_add_co_u32 v[\vTmp1], vcc, -1, v[\vQuotient]    // 
v_cmp_le_u32 vcc, v[\vDivisor], v[\vTmp0]          // 
s_and_b64 vcc, s[\sTmp:\sTmp+1], vcc               // 
v_cndmask_b32 v[\vQuotient], v[\vQuotient], v[\vRemainder], vcc // 
v_cndmask_b32 v[\vQuotient], v[\vTmp1], v[\vQuotient], s[\sTmp:\sTmp+1] // 
v_cmp_ne_i32 vcc, 0x0, v[\vDivisor]                // 
v_cndmask_b32 v[\vQuotient], -1, v[\vQuotient], vcc // final result
v_mul_lo_u32 v[\vRemainder], v[\vQuotient], v[\vDivisor] // 
_v_sub_co_u32 v[\vRemainder], vcc, v[\vDividend], v[\vRemainder] // final result
.endm


	;; [unrolled: 1-line block ×3, first 2 shown]
/******************************************/
/* Allocate Resources                     */
/******************************************/

Cijk_Alik_Bljk_B8B8S_BH_MT256x256x64_MI32x32x16x1_SN_1LDSB1_APM1_AF0EM16_AF1EM16_AMAS0_ASE_ASGT3512_ASLT_ASM_ASAE01_ASCE01_ASEM128_BL1_BS1_CLR0_DTVA0_DTVB0_ETSP_EPS1_ELFLR0_EMLL0_FSSC10_FL0_GLVWA16_GLVWB16_GRCGA1_GRPM1_GRVW16_GSU1_GSUASB_GLS0_IU1_K1_LBSPPA128_LBSPPB128_LPA16_LPB16_LRVW16_LWPMn1_MIAV0_MKFGSU256_NTA0_NTB0_NTC3_NTD3_NEPBS0_NLCA1_NLCB1_ONLL1_PGR2_PLR5_PKA0_SIA3_SLW1_SS1_SU0_SUM0_SUS0_SPO1_SRVW0_SSO4_SVW1_TSGRA0_TSGRB0_TT8_64_TLDS1_UMLDSA1_UMLDSB1_USFGROn1_VAW1_VSn1_VW1_VWB1_VFLRP0_WSGRA0_WSGRB0_WG32_8_1_WGM32_preloaded: // Kernel start when preloading
s_setprio 3                                        // optimization store

/* Load Kernel Args */
_s_load_b512 s[24:39], s[sgprKernArgAddress:sgprKernArgAddress+1], 0x0 // 
_s_load_b256 s[40:47], s[sgprKernArgAddress:sgprKernArgAddress+1], 0x40 // 
_s_load_b128 s[48:51], s[sgprKernArgAddress:sgprKernArgAddress+1], 0x60 // 
_s_load_b64 s[52:53], s[sgprKernArgAddress:sgprKernArgAddress+1], 0x70 // 
_s_load_b32 s54, s[sgprKernArgAddress:sgprKernArgAddress+1], 0x78 // 
s_mov_b32 m0, 0x9000                               // LDS clamp at 36864 bytes
v_mov_b32 v[vgprSerial], v0                        // thread serial id

/******************************************/
/* Local Read Addresses                   */
/******************************************/


/* local read addresses: tile assignments a/b */

/*lr0I*/
v_and_b32 v1, 63, v[vgprSerial]                    // 0. thread id in wave: wtid = tid % wavelength(64)
v_and_b32 v0, 31, v1                               // 1. N offset: nIdx = wtid % MI_N(32)
v_lshlrev_b32 v0, 0x6, v0                          // 1. N offset: nOffset = nIdx * nStride(64)
                                                   // 2. block offset: bnIdx = bnIdx % num1DBlocks(1) is 0. do nothing
                                                   // 4. apply VectorWidth: bnOffset = bnOffset * vw(1) (multiplier is 1, do nothing)
v_lshrrev_b32 v1, 5, v1                            // 5. K offset: kIdx = wtid / (MIN(32) * MIBB(1))
v_lshlrev_b32 v1, 0x4, v1                          // 5. K offset: lrKOffset = kIdx * mStride(16)
_v_add_u32 v0, v1, v0                              // 6. offset in wave: lrOffset = bnOffset + lrKOffset
/*lr1J*/
v_and_b32 v2, 63, v[vgprSerial]                    // 0. thread id in wave: wtid = tid % wavelength(64)
v_and_b32 v1, 31, v2                               // 1. N offset: nIdx = wtid % MI_N(32)
v_lshlrev_b32 v1, 0x6, v1                          // 1. N offset: nOffset = nIdx * nStride(64)
                                                   // 2. block offset: bnIdx = bnIdx % num1DBlocks(1) is 0. do nothing
                                                   // 4. apply VectorWidth: bnOffset = bnOffset * vw(1) (multiplier is 1, do nothing)
v_lshrrev_b32 v2, 5, v2                            // 5. K offset: kIdx = wtid / (MIN(32) * MIBB(1))
v_lshlrev_b32 v2, 0x4, v2                          // 5. K offset: lrKOffset = kIdx * mStride(16)
_v_add_u32 v1, v2, v1                              // 6. offset in wave: lrOffset = bnOffset + lrKOffset
v_lshrrev_b32 v3, 6, v[vgprSerial]                 // 7. wave offset in N dimen: wtid = tid / dividedForWaveId(64)
v_and_b32 v2, 3, v3                                // 7. wave offset in M dimen: wtid0 = wtid / num1DWaves(4)
v_lshlrev_b32 v2, 0xb, v2                          // 7. wave offset in M dimen: wOffset = wtid0 * W0Stride(2048)
_v_add_u32 v1, v2, v1                              // 8. final local read offset: flrOffset = lrOffset + WOffset


/* local read addresses: final offsets a */

v_lshlrev_b32 v[vgprLocalReadAddrA], 0x0, v0       // Final Offset: offset = (lro0)*bpe
v_lshrrev_b32 v0, 7, v[vgprLocalReadAddrA]         // Final Offset: padding 16 per block 128
v_lshlrev_b32 v0, 0x4, v0                          // Final Offset: padding 16 per block 128
_v_add_u32 v[vgprLocalReadAddrA], v0, v[vgprLocalReadAddrA] // Final Offset: add padding 16 per block 128


/* local read addresses: final offsets b */

v_lshlrev_b32 v[vgprLocalReadAddrB], 0x0, v1       // Final Offset: offset = (lro1)*bpe
v_lshrrev_b32 v0, 7, v[vgprLocalReadAddrB]         // Final Offset: padding 16 per block 128
v_lshlrev_b32 v0, 0x4, v0                          // Final Offset: padding 16 per block 128
_v_add_u32 v[vgprLocalReadAddrB], v0, v[vgprLocalReadAddrB] // Final Offset: add padding 16 per block 128


/* local read addresses: declare addresses a */

/* N/A */


/* local read addresses: declare addresses b */

_v_add_co_u32 v[vgprLocalReadAddrB+0], vcc, 0x4800, v[vgprLocalReadAddrB+0] //  += LdsOffsetB (lower)


/* global read addresses: tile offset assignment a */

/* LVCA = 4 */
/* v0 = (local)groA-tile = serial/LVCA (note (wgA*MTA) will be added to SRD) */
/* v1 = groA-unroll = serial%LVCA */
v_lshrrev_b32 v0, 2, v[vgprSerial]                 // v0 = v[vgprSerial] / 4
v_and_b32 v1, 3, v[vgprSerial]                     // v1 = v[vgprSerial] % 4
/* gro-unroll *= glvw */
v_lshlrev_b32 v1, 0x4, v1                          // v1 = v1 * 16


/* global read addresses: tile offset assignment b */

/* LVCB = 4 */
/* v2 = (local)groB-tile = serial/LVCB (note (wgB*MTB) will be added to SRD) */
/* v3 = groB-unroll = serial%LVCB */
v_lshrrev_b32 v2, 2, v[vgprSerial]                 // v2 = v[vgprSerial] / 4
v_and_b32 v3, 3, v[vgprSerial]                     // v3 = v[vgprSerial] % 4
/* gro-unroll *= glvw */
v_lshlrev_b32 v3, 0x4, v3                          // v3 = v3 * 16


/******************************************/
/* Local Write Addresses                  */
/******************************************/

/* lwaTileAssignmentA = v0 */

/* lwaTileAssignmentB = v2 */

/* lwaUnrollAssignmentA = v1 */

/* lwaUnrollAssignmentB = v3 */


/* local write addresses: first offset a */

v_mul_u32_u24 v[vgprLocalWriteAddrA], 0x40, v0     // lwAL**(DepthU_Compute + PAD)
_v_add_lshl_u32 v[vgprLocalWriteAddrA], v1, v[vgprLocalWriteAddrA], 0x0 // lwFOA = (lwAA + lwAL*(DepthU+PAD))*bpe
v_lshrrev_b32 v4, 7, v[vgprLocalWriteAddrA]        // padding 16 per block 128
v_lshlrev_b32 v4, 0x4, v4                          // padding 16 per block 128
_v_add_u32 v[vgprLocalWriteAddrA], v4, v[vgprLocalWriteAddrA] // add padding 16 per block 128


/* local write addresses: first offset b */

v_mul_u32_u24 v[vgprLocalWriteAddrB], 0x40, v2     // lwBL**(DepthU_Compute + PAD)
_v_add_lshl_u32 v[vgprLocalWriteAddrB], v3, v[vgprLocalWriteAddrB], 0x0 // lwFOB = (lwBB + lwBL*(DepthU+PAD))*bpe
v_lshrrev_b32 v4, 7, v[vgprLocalWriteAddrB]        // padding 16 per block 128
v_lshlrev_b32 v4, 0x4, v4                          // padding 16 per block 128
_v_add_u32 v[vgprLocalWriteAddrB], v4, v[vgprLocalWriteAddrB] // add padding 16 per block 128
_v_add_co_u32 v[vgprLocalWriteAddrB], vcc, 0x4800, v[vgprLocalWriteAddrB] // lwFOB = lwB1J + lwBL*MT1J + LDS_OFFSET_B=18432*1


	;; [unrolled: 1-line block ×7, first 2 shown]
s_waitcnt lgkmcnt(0)                               // wait for 124 bytes of kern args
s_mov_b64 s[sgprSrdC+0:sgprSrdC+0+1], s[sgprAddressC+0:sgprAddressC+0+1] // copy addressC
s_mov_b64 s[sgprSrdD+0:sgprSrdD+0+1], s[sgprAddressD+0:sgprAddressD+0+1] // copy addressD
s_sub_u32 s[sgprSrdA+0], s[sgprAddressA+0], 16     // pre-pad to make room for possible pointer shift
s_subb_u32 s[sgprSrdA+1], s[sgprAddressA+1], 0     // pre-pad to make room for possible pointer shift
s_sub_u32 s[sgprSrdB+0], s[sgprAddressB+0], 16     // pre-pad to make room for possible pointer shift
s_subb_u32 s[sgprSrdB+1], s[sgprAddressB+1], 0     // pre-pad to make room for possible pointer shift

.set AddressD, UNDEF
.set AddressC, UNDEF
.set AddressA, UNDEF
.set AddressB, UNDEF

/* Short circuit condition if Alpha == 0, then sumDims=0 */
v_cmp_eq_f32 vcc, s[sgprAlpha], 0.0                // Alpha == 0.0f ?
s_cbranch_vccz label_AlphaNonZero                  // branch if alpha != 0
s_mov_b32 s[sgprSizesSum+0], 0x0                   // Set summation dim=0 if Alpha == 0
label_AlphaNonZero:


	;; [unrolled: 1-line block ×3, first 2 shown]
/******************************************/
/* Begin setupNewTile, isPap=False           */
/******************************************/


/* global read addresses: work-group */

/* graWorkGroup mapping */
s_mov_b32 s65, 0x4000001L                          // magic number for WGM==32
s_mul_hi_u32 s63, s[sgprWorkGroup1], s65           // s_magic mul
s_mul_i32 s62, s[sgprWorkGroup1], s65              // s_magic mul
s_lshr_b64 s[62:63], s[62:63], 31                  // sMagicDiv
s_mul_i32 s63, s62, 32                             // quotient * non-magic divisor
s_sub_u32 s63, s[sgprWorkGroup1], s63              // WorkGroup1=remainder
s_mul_i32 s63, s63, s[sgprNumWorkGroups0]          // (wg1 % WGM)*nwg0
s_add_u32 s63, s63, s[sgprWorkGroup0]              // wgSerial = wg0 + (wg1 % WGM)*nwg1
s_cmp_ge_u32 s62, s[sgprNumFullBlocks]             // blockId >= numFullBlocks ?
s_cmov_b32 s65, s[sgprMagicNumberWgmRemainder1]    // 
s_cselect_b32 s64, s[sgprWgmRemainder1], 32        // 
s_mul_hi_u32 s3, s63, s65                          // s_magic mul
s_mul_i32 s2, s63, s65                             // s_magic mul
s_lshr_b64 s[2:3], s[2:3], 31                      // sMagicDiv
s_mul_i32 s[sgprWorkGroup1], s[sgprWorkGroup0], s64 // quotient * non-magic divisor
s_sub_u32 s[sgprWorkGroup1], s63, s[sgprWorkGroup1] // WorkGroup1=remainder
s_mul_i32 s62, s62, 32                             // blockId * WGM
s_add_u32 s[sgprWorkGroup1], s[sgprWorkGroup1], s62 // wg1 += blockId * WGM


/* global read addresses: unroll assignment a */

/* v1 */


/* global read addresses: unroll assignment b */

/* v3 */


/* global read addresses: other free assignments */

/* s[sgprWorkGroup2] */


/* global read addresses: tile offsets a */


	;; [unrolled: 1-line block ×3, first 2 shown]
/* global read addresses: tile offsets b */


	;; [unrolled: 1-line block ×3, first 2 shown]
/* global read addresses: unroll offsets a */



/* global read addresses: unroll offsets b */


	;; [unrolled: 1-line block ×3, first 2 shown]
/* global read addresses: final offsets a */

GLOBAL_OFFSET_A vgprGlobalReadOffsetA+0,  1,  0, 4 // gROA_0_0_0_0
s_mul_i32 s[sgprScalarGlobalReadOffsetA+0], s[sgprStrideA0I], 64 // compute offset diff (scaled tileDim)
s_lshl_b32 s[sgprScalarGlobalReadOffsetA+0], s[sgprScalarGlobalReadOffsetA+0], 0x0 // scalar offset *= bytes/element
s_mul_i32 s[sgprScalarGlobalReadOffsetA+1], s[sgprStrideA0I], 128 // compute offset diff (scaled tileDim)
s_lshl_b32 s[sgprScalarGlobalReadOffsetA+1], s[sgprScalarGlobalReadOffsetA+1], 0x0 // scalar offset *= bytes/element
	;; [unrolled: 2-line block ×3, first 2 shown]


/* global read addresses: final offsets b */

GLOBAL_OFFSET_B vgprGlobalReadOffsetB+0,  3,  2, 4 // gROB_0_0_0_0
s_mul_i32 s[sgprScalarGlobalReadOffsetB+0], s[sgprStrideB1J], 64 // compute offset diff (scaled tileDim)
s_lshl_b32 s[sgprScalarGlobalReadOffsetB+0], s[sgprScalarGlobalReadOffsetB+0], 0x0 // scalar offset *= bytes/element
s_mul_i32 s[sgprScalarGlobalReadOffsetB+1], s[sgprStrideB1J], 128 // compute offset diff (scaled tileDim)
s_lshl_b32 s[sgprScalarGlobalReadOffsetB+1], s[sgprScalarGlobalReadOffsetB+1], 0x0 // scalar offset *= bytes/element
	;; [unrolled: 2-line block ×3, first 2 shown]


/* global read addresses: addresses a */

/* max read offset = size[n] * stride[n-1] */
s_mul_hi_u32 s63, s[sgprWorkGroup0], 256           // WorkGroup[01] * MT
s_mul_i32 s62, s[sgprWorkGroup0], 256              // WorkGroup[01] * MT
s_mul_hi_u32 s63, s62, s[sgprStrideA0I]            // tlu=0, scaled tile-offset by stride
s_mul_i32 s62, s62, s[sgprStrideA0I]               // tlu=0, scaled tile-offset by stride
s_sub_u32 s[sgprShadowLimitA+0], s[sgprTensor2dSizeA], s62 // sub tileStart
s_subb_u32 s[sgprShadowLimitA+1], s[sgprTensor2dSizeA+1], s63 // sub tileStart
s_lshl_b64 s[sgprShadowLimitA:sgprShadowLimitA+1], s[sgprShadowLimitA:sgprShadowLimitA+1], 0x0 // Set limit to use bytes
s_add_u32 s[sgprShadowLimitA+0], s[sgprShadowLimitA+0], 16 // extend limit for pre-pad
s_addc_u32 s[sgprShadowLimitA+1], s[sgprShadowLimitA+1], 0 // extend limit for pre-pad
s_cmp_eq_u32 s[sgprShadowLimitA+1], 0              // are we within 2^32?
s_cselect_b32 s[sgprSrdA+2], s[sgprShadowLimitA+0], BufferLimitA // Move shadow to real if we are within 2^32
s_mul_hi_u32 s35, s[sgprStrideAK], s[sgprWorkGroup2] // Stride*WG
s_mul_i32 s34, s[sgprStrideAK], s[sgprWorkGroup2]  // Stride*WG
s_add_u32 s62, s62, s34                            // accum wg term to tilestart
s_addc_u32 s63, s63, s35                           // accum wg term to tilestart
                                                   // tileStart *= BPE (multiplier is 1, do nothing)
s_add_u32 s[sgprSrdA+0], s[sgprSrdA+0], s62        // SRD base = Address+ tileStart0
s_addc_u32 s[sgprSrdA+1], s[sgprSrdA+1], s63       // SRD base = Address+ tileStart1
s_mov_b32 s[sgprSrdA+3], Srd127_96                 // Set bits 127_96 in SRD


/* global read addresses: addresses b */

/* max read offset = size[n] * stride[n-1] */
s_mul_hi_u32 s63, s[sgprWorkGroup1], 256           // WorkGroup[01] * MT
s_mul_i32 s62, s[sgprWorkGroup1], 256              // WorkGroup[01] * MT
s_mul_hi_u32 s63, s62, s[sgprStrideB1J]            // tlu=0, scaled tile-offset by stride
s_mul_i32 s62, s62, s[sgprStrideB1J]               // tlu=0, scaled tile-offset by stride
s_sub_u32 s[sgprShadowLimitB+0], s[sgprTensor2dSizeB], s62 // sub tileStart
s_subb_u32 s[sgprShadowLimitB+1], s[sgprTensor2dSizeB+1], s63 // sub tileStart
s_lshl_b64 s[sgprShadowLimitB:sgprShadowLimitB+1], s[sgprShadowLimitB:sgprShadowLimitB+1], 0x0 // Set limit to use bytes
s_add_u32 s[sgprShadowLimitB+0], s[sgprShadowLimitB+0], 16 // extend limit for pre-pad
s_addc_u32 s[sgprShadowLimitB+1], s[sgprShadowLimitB+1], 0 // extend limit for pre-pad
s_cmp_eq_u32 s[sgprShadowLimitB+1], 0              // are we within 2^32?
s_cselect_b32 s[sgprSrdB+2], s[sgprShadowLimitB+0], BufferLimitB // Move shadow to real if we are within 2^32
s_mul_hi_u32 s35, s[sgprStrideBK], s[sgprWorkGroup2] // Stride*WG
s_mul_i32 s34, s[sgprStrideBK], s[sgprWorkGroup2]  // Stride*WG
s_add_u32 s62, s62, s34                            // accum wg term to tilestart
s_addc_u32 s63, s63, s35                           // accum wg term to tilestart
                                                   // tileStart *= BPE (multiplier is 1, do nothing)
s_add_u32 s[sgprSrdB+0], s[sgprSrdB+0], s62        // SRD base = Address+ tileStart0
s_addc_u32 s[sgprSrdB+1], s[sgprSrdB+1], s63       // SRD base = Address+ tileStart1
s_mov_b32 s[sgprSrdB+3], Srd127_96                 // Set bits 127_96 in SRD


/* global read addresses: increments a */

s_mov_b32 s[sgprGlobalReadIncsA+0], DepthU*BpeA    // incrA (unrollIdx)


/* global read addresses: increments b */

s_mov_b32 s[sgprGlobalReadIncsB+0], DepthU*BpeB    // incrB (unrollIdx)

/* declare loop num iterations */


s_lshr_b32 s[sgprLoopCounterL], s[sgprSizesSum+0], 6 // s[sgprLoopCounterL] = s[sgprSizesSum+0] / 64
s_mov_b32 s[sgprOrigLoopCounter], s[sgprLoopCounterL] // copy loop counter

/* local read addresses: init pointers a */


/* localReadInitPointers */

/* local read addresses: init pointers b */


/* localReadInitPointers */


/* prefetch: global -> local */

s_cmp_eq_u32 s[sgprLoopCounterL], 0                // at last iteration?
s_setprio 0                                        // optimization store
s_cbranch_scc1 ShadowInitStart_10                  // skip to ShadowInitStart iter b/c numIter==0


_buffer_load_b128 v[vgprG2LA+0:vgprG2LA+0+3], v[vgprGlobalReadOffsetA+0], s[sgprSrdA:sgprSrdA+3], 0, offen offset:0 // G -> Reg 0_0_0_0
_buffer_load_b128 v[vgprG2LA+4:vgprG2LA+4+3], v[vgprGlobalReadOffsetA+0], s[sgprSrdA:sgprSrdA+3], s[sgprScalarGlobalReadOffsetA+0], offen offset:0 // G -> Reg 0_0_1_0
_buffer_load_b128 v[vgprG2LA+8:vgprG2LA+8+3], v[vgprGlobalReadOffsetA+0], s[sgprSrdA:sgprSrdA+3], s[sgprScalarGlobalReadOffsetA+1], offen offset:0 // G -> Reg 0_0_2_0
_buffer_load_b128 v[vgprG2LA+12:vgprG2LA+12+3], v[vgprGlobalReadOffsetA+0], s[sgprSrdA:sgprSrdA+3], s[sgprScalarGlobalReadOffsetA+2], offen offset:0 // G -> Reg 0_0_3_0


_buffer_load_b128 v[vgprG2LB+0:vgprG2LB+0+3], v[vgprGlobalReadOffsetB+0], s[sgprSrdB:sgprSrdB+3], 0, offen offset:0 // G -> Reg 0_0_0_0
_buffer_load_b128 v[vgprG2LB+4:vgprG2LB+4+3], v[vgprGlobalReadOffsetB+0], s[sgprSrdB:sgprSrdB+3], s[sgprScalarGlobalReadOffsetB+0], offen offset:0 // G -> Reg 0_0_1_0
_buffer_load_b128 v[vgprG2LB+8:vgprG2LB+8+3], v[vgprGlobalReadOffsetB+0], s[sgprSrdB:sgprSrdB+3], s[sgprScalarGlobalReadOffsetB+1], offen offset:0 // G -> Reg 0_0_2_0
_buffer_load_b128 v[vgprG2LB+12:vgprG2LB+12+3], v[vgprGlobalReadOffsetB+0], s[sgprSrdB:sgprSrdB+3], s[sgprScalarGlobalReadOffsetB+2], offen offset:0 // G -> Reg 0_0_3_0


/* global read inc A loopL */
s_add_u32 s[sgprSrdA+0], s[sgprSrdA+0], s[sgprGlobalReadIncsA+0] // gra SRD += inc(lower)
s_addc_u32  s[sgprSrdA+1], s[sgprSrdA+1], 0        // gra SRD += inc(upper)
s_sub_u32 s[sgprShadowLimitA+0], s[sgprShadowLimitA+0], s[sgprGlobalReadIncsA+0] // limit -= inc)
s_subb_u32 s[sgprShadowLimitA+1], s[sgprShadowLimitA+1], 0 // limit -= inc)
s_cmp_eq_u32 s[sgprShadowLimitA+1], 0              // are we within 2^32?
s_cmov_b32 s[sgprSrdA+2], s[sgprShadowLimitA+0]    // Move shadow to real if we are within 2^32

/* global read inc B loopL */
s_add_u32 s[sgprSrdB+0], s[sgprSrdB+0], s[sgprGlobalReadIncsB+0] // gra SRD += inc(lower)
s_addc_u32  s[sgprSrdB+1], s[sgprSrdB+1], 0        // gra SRD += inc(upper)
s_sub_u32 s[sgprShadowLimitB+0], s[sgprShadowLimitB+0], s[sgprGlobalReadIncsB+0] // limit -= inc)
s_subb_u32 s[sgprShadowLimitB+1], s[sgprShadowLimitB+1], 0 // limit -= inc)
s_cmp_eq_u32 s[sgprShadowLimitB+1], 0              // are we within 2^32?
s_cmov_b32 s[sgprSrdB+2], s[sgprShadowLimitB+0]    // Move shadow to real if we are within 2^32


/******************************************/
/* End setupNewTile, isPap=False             */
/******************************************/

ShadowInitStart_10: // 

s_mov_b32 s[sgprSrdD+2], BufferOOB                 // 
s_mov_b32 s[sgprSrdD+3], Srd127_96                 // Set bits 127_96 in post-loop SRD

s_mov_b32 s[sgprSrdC+2], BufferOOB                 // 
s_mov_b32 s[sgprSrdC+3], Srd127_96                 // Set bits 127_96 in post-loop SRD


s_mul_i32 s64, MT1, s[sgprWorkGroup1]              // <- wg1*MT1
s_mul_hi_u32 s63, s64, s[sgprStrideC1J]            // CScale s64 by Stride
s_mul_i32 s62, s64, s[sgprStrideC1J]               // CScale s64 by Stride
s_lshl_b64 s[62:63], s[62:63], 0                   // scale by bpe
s_add_u32 s[sgprSrdC+0], s[sgprSrdC+0], s62        // add lo to SRD
s_addc_u32 s[sgprSrdC+1], s[sgprSrdC+1], s63       // add hi to SRD
s_mul_hi_u32 s63, s64, s[sgprStrideD1J]            // Scale s64 by Stride
s_mul_i32 s62, s64, s[sgprStrideD1J]               // Scale s64 by Stride
s_lshl_b64 s[62:63], s[62:63], 0                   // scale by bpe
s_add_u32 s[sgprSrdD+0], s[sgprSrdD+0], s62        // add lo to SRD
s_addc_u32 s[sgprSrdD+1], s[sgprSrdD+1], s63       // add hi to SRD

s_mul_hi_u32 s63, s[sgprWorkGroup2], s[sgprStrideCK] // CScale s[sgprWorkGroup2] by Stride
s_mul_i32 s62, s[sgprWorkGroup2], s[sgprStrideCK]  // CScale s[sgprWorkGroup2] by Stride
s_lshl_b64 s[62:63], s[62:63], 0                   // scale by bpe
s_add_u32 s[sgprSrdC+0], s[sgprSrdC+0], s62        // add lo to SRD
s_addc_u32 s[sgprSrdC+1], s[sgprSrdC+1], s63       // add hi to SRD
s_mul_hi_u32 s63, s[sgprWorkGroup2], s[sgprStrideDK] // Scale s[sgprWorkGroup2] by Stride
s_mul_i32 s62, s[sgprWorkGroup2], s[sgprStrideDK]  // Scale s[sgprWorkGroup2] by Stride
s_lshl_b64 s[62:63], s[62:63], 0                   // scale by bpe
s_add_u32 s[sgprSrdD+0], s[sgprSrdD+0], s62        // add lo to SRD
s_addc_u32 s[sgprSrdD+1], s[sgprSrdD+1], s63       // add hi to SRD


	;; [unrolled: 1-line block ×3, first 2 shown]
/* initC: remove C-tile 0-0 from pool */

/* initC: remove AB-tile 0-80 from pool */
v_accvgpr_write acc0, 0x0                          // initC
v_accvgpr_write acc1, 0x0                          // initC
v_accvgpr_write acc2, 0x0                          // initC
v_accvgpr_write acc3, 0x0                          // initC
v_accvgpr_write acc4, 0x0                          // initC
v_accvgpr_write acc5, 0x0                          // initC
v_accvgpr_write acc6, 0x0                          // initC
v_accvgpr_write acc7, 0x0                          // initC
v_accvgpr_write acc8, 0x0                          // initC
v_accvgpr_write acc9, 0x0                          // initC
v_accvgpr_write acc10, 0x0                         // initC
v_accvgpr_write acc11, 0x0                         // initC
v_accvgpr_write acc12, 0x0                         // initC
v_accvgpr_write acc13, 0x0                         // initC
v_accvgpr_write acc14, 0x0                         // initC
v_accvgpr_write acc15, 0x0                         // initC
v_accvgpr_write acc16, 0x0                         // initC
v_accvgpr_write acc17, 0x0                         // initC
v_accvgpr_write acc18, 0x0                         // initC
v_accvgpr_write acc19, 0x0                         // initC
v_accvgpr_write acc20, 0x0                         // initC
v_accvgpr_write acc21, 0x0                         // initC
v_accvgpr_write acc22, 0x0                         // initC
v_accvgpr_write acc23, 0x0                         // initC
v_accvgpr_write acc24, 0x0                         // initC
v_accvgpr_write acc25, 0x0                         // initC
v_accvgpr_write acc26, 0x0                         // initC
v_accvgpr_write acc27, 0x0                         // initC
v_accvgpr_write acc28, 0x0                         // initC
v_accvgpr_write acc29, 0x0                         // initC
v_accvgpr_write acc30, 0x0                         // initC
v_accvgpr_write acc31, 0x0                         // initC
v_accvgpr_write acc32, 0x0                         // initC
v_accvgpr_write acc33, 0x0                         // initC
v_accvgpr_write acc34, 0x0                         // initC
v_accvgpr_write acc35, 0x0                         // initC
v_accvgpr_write acc36, 0x0                         // initC
v_accvgpr_write acc37, 0x0                         // initC
v_accvgpr_write acc38, 0x0                         // initC
v_accvgpr_write acc39, 0x0                         // initC
v_accvgpr_write acc40, 0x0                         // initC
v_accvgpr_write acc41, 0x0                         // initC
v_accvgpr_write acc42, 0x0                         // initC
v_accvgpr_write acc43, 0x0                         // initC
v_accvgpr_write acc44, 0x0                         // initC
v_accvgpr_write acc45, 0x0                         // initC
v_accvgpr_write acc46, 0x0                         // initC
v_accvgpr_write acc47, 0x0                         // initC
v_accvgpr_write acc48, 0x0                         // initC
v_accvgpr_write acc49, 0x0                         // initC
v_accvgpr_write acc50, 0x0                         // initC
v_accvgpr_write acc51, 0x0                         // initC
v_accvgpr_write acc52, 0x0                         // initC
v_accvgpr_write acc53, 0x0                         // initC
v_accvgpr_write acc54, 0x0                         // initC
v_accvgpr_write acc55, 0x0                         // initC
v_accvgpr_write acc56, 0x0                         // initC
v_accvgpr_write acc57, 0x0                         // initC
v_accvgpr_write acc58, 0x0                         // initC
v_accvgpr_write acc59, 0x0                         // initC
v_accvgpr_write acc60, 0x0                         // initC
v_accvgpr_write acc61, 0x0                         // initC
v_accvgpr_write acc62, 0x0                         // initC
v_accvgpr_write acc63, 0x0                         // initC
v_accvgpr_write acc64, 0x0                         // initC
v_accvgpr_write acc65, 0x0                         // initC
v_accvgpr_write acc66, 0x0                         // initC
v_accvgpr_write acc67, 0x0                         // initC
v_accvgpr_write acc68, 0x0                         // initC
v_accvgpr_write acc69, 0x0                         // initC
v_accvgpr_write acc70, 0x0                         // initC
v_accvgpr_write acc71, 0x0                         // initC
v_accvgpr_write acc72, 0x0                         // initC
v_accvgpr_write acc73, 0x0                         // initC
v_accvgpr_write acc74, 0x0                         // initC
v_accvgpr_write acc75, 0x0                         // initC
v_accvgpr_write acc76, 0x0                         // initC
v_accvgpr_write acc77, 0x0                         // initC
v_accvgpr_write acc78, 0x0                         // initC
v_accvgpr_write acc79, 0x0                         // initC
v_accvgpr_write acc80, 0x0                         // initC
v_accvgpr_write acc81, 0x0                         // initC
v_accvgpr_write acc82, 0x0                         // initC
v_accvgpr_write acc83, 0x0                         // initC
v_accvgpr_write acc84, 0x0                         // initC
v_accvgpr_write acc85, 0x0                         // initC
v_accvgpr_write acc86, 0x0                         // initC
v_accvgpr_write acc87, 0x0                         // initC
v_accvgpr_write acc88, 0x0                         // initC
v_accvgpr_write acc89, 0x0                         // initC
v_accvgpr_write acc90, 0x0                         // initC
v_accvgpr_write acc91, 0x0                         // initC
v_accvgpr_write acc92, 0x0                         // initC
v_accvgpr_write acc93, 0x0                         // initC
v_accvgpr_write acc94, 0x0                         // initC
v_accvgpr_write acc95, 0x0                         // initC
v_accvgpr_write acc96, 0x0                         // initC
v_accvgpr_write acc97, 0x0                         // initC
v_accvgpr_write acc98, 0x0                         // initC
v_accvgpr_write acc99, 0x0                         // initC
v_accvgpr_write acc100, 0x0                        // initC
v_accvgpr_write acc101, 0x0                        // initC
v_accvgpr_write acc102, 0x0                        // initC
v_accvgpr_write acc103, 0x0                        // initC
v_accvgpr_write acc104, 0x0                        // initC
v_accvgpr_write acc105, 0x0                        // initC
v_accvgpr_write acc106, 0x0                        // initC
v_accvgpr_write acc107, 0x0                        // initC
v_accvgpr_write acc108, 0x0                        // initC
v_accvgpr_write acc109, 0x0                        // initC
v_accvgpr_write acc110, 0x0                        // initC
v_accvgpr_write acc111, 0x0                        // initC
v_accvgpr_write acc112, 0x0                        // initC
v_accvgpr_write acc113, 0x0                        // initC
v_accvgpr_write acc114, 0x0                        // initC
v_accvgpr_write acc115, 0x0                        // initC
v_accvgpr_write acc116, 0x0                        // initC
v_accvgpr_write acc117, 0x0                        // initC
v_accvgpr_write acc118, 0x0                        // initC
v_accvgpr_write acc119, 0x0                        // initC
v_accvgpr_write acc120, 0x0                        // initC
v_accvgpr_write acc121, 0x0                        // initC
v_accvgpr_write acc122, 0x0                        // initC
v_accvgpr_write acc123, 0x0                        // initC
v_accvgpr_write acc124, 0x0                        // initC
v_accvgpr_write acc125, 0x0                        // initC
v_accvgpr_write acc126, 0x0                        // initC
v_accvgpr_write acc127, 0x0                        // initC
v_accvgpr_write acc128, 0x0                        // initC
v_accvgpr_write acc129, 0x0                        // initC
v_accvgpr_write acc130, 0x0                        // initC
v_accvgpr_write acc131, 0x0                        // initC
v_accvgpr_write acc132, 0x0                        // initC
v_accvgpr_write acc133, 0x0                        // initC
v_accvgpr_write acc134, 0x0                        // initC
v_accvgpr_write acc135, 0x0                        // initC
v_accvgpr_write acc136, 0x0                        // initC
v_accvgpr_write acc137, 0x0                        // initC
v_accvgpr_write acc138, 0x0                        // initC
v_accvgpr_write acc139, 0x0                        // initC
v_accvgpr_write acc140, 0x0                        // initC
v_accvgpr_write acc141, 0x0                        // initC
v_accvgpr_write acc142, 0x0                        // initC
v_accvgpr_write acc143, 0x0                        // initC
v_accvgpr_write acc144, 0x0                        // initC
v_accvgpr_write acc145, 0x0                        // initC
v_accvgpr_write acc146, 0x0                        // initC
v_accvgpr_write acc147, 0x0                        // initC
v_accvgpr_write acc148, 0x0                        // initC
v_accvgpr_write acc149, 0x0                        // initC
v_accvgpr_write acc150, 0x0                        // initC
v_accvgpr_write acc151, 0x0                        // initC
v_accvgpr_write acc152, 0x0                        // initC
v_accvgpr_write acc153, 0x0                        // initC
v_accvgpr_write acc154, 0x0                        // initC
v_accvgpr_write acc155, 0x0                        // initC
v_accvgpr_write acc156, 0x0                        // initC
v_accvgpr_write acc157, 0x0                        // initC
v_accvgpr_write acc158, 0x0                        // initC
v_accvgpr_write acc159, 0x0                        // initC
v_accvgpr_write acc160, 0x0                        // initC
v_accvgpr_write acc161, 0x0                        // initC
v_accvgpr_write acc162, 0x0                        // initC
v_accvgpr_write acc163, 0x0                        // initC
v_accvgpr_write acc164, 0x0                        // initC
v_accvgpr_write acc165, 0x0                        // initC
v_accvgpr_write acc166, 0x0                        // initC
v_accvgpr_write acc167, 0x0                        // initC
v_accvgpr_write acc168, 0x0                        // initC
v_accvgpr_write acc169, 0x0                        // initC
v_accvgpr_write acc170, 0x0                        // initC
v_accvgpr_write acc171, 0x0                        // initC
v_accvgpr_write acc172, 0x0                        // initC
v_accvgpr_write acc173, 0x0                        // initC
v_accvgpr_write acc174, 0x0                        // initC
v_accvgpr_write acc175, 0x0                        // initC
v_accvgpr_write acc176, 0x0                        // initC
v_accvgpr_write acc177, 0x0                        // initC
v_accvgpr_write acc178, 0x0                        // initC
v_accvgpr_write acc179, 0x0                        // initC
v_accvgpr_write acc180, 0x0                        // initC
v_accvgpr_write acc181, 0x0                        // initC
v_accvgpr_write acc182, 0x0                        // initC
v_accvgpr_write acc183, 0x0                        // initC
v_accvgpr_write acc184, 0x0                        // initC
v_accvgpr_write acc185, 0x0                        // initC
v_accvgpr_write acc186, 0x0                        // initC
v_accvgpr_write acc187, 0x0                        // initC
v_accvgpr_write acc188, 0x0                        // initC
v_accvgpr_write acc189, 0x0                        // initC
v_accvgpr_write acc190, 0x0                        // initC
v_accvgpr_write acc191, 0x0                        // initC
v_accvgpr_write acc192, 0x0                        // initC
v_accvgpr_write acc193, 0x0                        // initC
v_accvgpr_write acc194, 0x0                        // initC
v_accvgpr_write acc195, 0x0                        // initC
v_accvgpr_write acc196, 0x0                        // initC
v_accvgpr_write acc197, 0x0                        // initC
v_accvgpr_write acc198, 0x0                        // initC
v_accvgpr_write acc199, 0x0                        // initC
v_accvgpr_write acc200, 0x0                        // initC
v_accvgpr_write acc201, 0x0                        // initC
v_accvgpr_write acc202, 0x0                        // initC
v_accvgpr_write acc203, 0x0                        // initC
v_accvgpr_write acc204, 0x0                        // initC
v_accvgpr_write acc205, 0x0                        // initC
v_accvgpr_write acc206, 0x0                        // initC
v_accvgpr_write acc207, 0x0                        // initC
v_accvgpr_write acc208, 0x0                        // initC
v_accvgpr_write acc209, 0x0                        // initC
v_accvgpr_write acc210, 0x0                        // initC
v_accvgpr_write acc211, 0x0                        // initC
v_accvgpr_write acc212, 0x0                        // initC
v_accvgpr_write acc213, 0x0                        // initC
v_accvgpr_write acc214, 0x0                        // initC
v_accvgpr_write acc215, 0x0                        // initC
v_accvgpr_write acc216, 0x0                        // initC
v_accvgpr_write acc217, 0x0                        // initC
v_accvgpr_write acc218, 0x0                        // initC
v_accvgpr_write acc219, 0x0                        // initC
v_accvgpr_write acc220, 0x0                        // initC
v_accvgpr_write acc221, 0x0                        // initC
v_accvgpr_write acc222, 0x0                        // initC
v_accvgpr_write acc223, 0x0                        // initC
v_accvgpr_write acc224, 0x0                        // initC
v_accvgpr_write acc225, 0x0                        // initC
v_accvgpr_write acc226, 0x0                        // initC
v_accvgpr_write acc227, 0x0                        // initC
v_accvgpr_write acc228, 0x0                        // initC
v_accvgpr_write acc229, 0x0                        // initC
v_accvgpr_write acc230, 0x0                        // initC
v_accvgpr_write acc231, 0x0                        // initC
v_accvgpr_write acc232, 0x0                        // initC
v_accvgpr_write acc233, 0x0                        // initC
v_accvgpr_write acc234, 0x0                        // initC
v_accvgpr_write acc235, 0x0                        // initC
v_accvgpr_write acc236, 0x0                        // initC
v_accvgpr_write acc237, 0x0                        // initC
v_accvgpr_write acc238, 0x0                        // initC
v_accvgpr_write acc239, 0x0                        // initC
v_accvgpr_write acc240, 0x0                        // initC
v_accvgpr_write acc241, 0x0                        // initC
v_accvgpr_write acc242, 0x0                        // initC
v_accvgpr_write acc243, 0x0                        // initC
v_accvgpr_write acc244, 0x0                        // initC
v_accvgpr_write acc245, 0x0                        // initC
v_accvgpr_write acc246, 0x0                        // initC
v_accvgpr_write acc247, 0x0                        // initC
v_accvgpr_write acc248, 0x0                        // initC
v_accvgpr_write acc249, 0x0                        // initC
v_accvgpr_write acc250, 0x0                        // initC
v_accvgpr_write acc251, 0x0                        // initC
v_accvgpr_write acc252, 0x0                        // initC
v_accvgpr_write acc253, 0x0                        // initC
v_accvgpr_write acc254, 0x0                        // initC
v_accvgpr_write acc255, 0x0                        // initC

s_cmp_eq_u32 s[sgprLoopCounterL], 0                // at last iteration?

/* after InitC, skip to end of prefetch last iter if numIter==0 */
s_cbranch_scc0 label_NoBranch_11                   // Only branch on scc1
s_getpc_B64 s[62:63]                               // addr of next instr
s_add_i32 s64, PrefetchGlobalLastIterEnd_5, 0x4    // target branch offset
s_add_u32 s62, s62, s64                            // add target branch offset
s_addc_u32 s63, s63, 0                             // add high and carry
s_setpc_b64 s[62:63]                               // branch to PrefetchGlobalLastIterEnd_5
label_NoBranch_11:

s_waitcnt vmcnt(0)                                 // lgkmcnt=-1 vmcnt=0 8wait for global read


/* local write a */
_ds_store_b128 v[vgprLocalWriteAddrA], v[vgprG2LA+0:vgprG2LA+0+3] offset:0 // lwoA_0_0_0_0 = (0*LSCA)*(MT0I+PAD) + (0*LSPA) = 0
_ds_store_b128 v[vgprLocalWriteAddrA], v[vgprG2LA+4:vgprG2LA+4+3] offset:4608 // lwoA_0_0_1_0 = (0*LSCA)*(MT0I+PAD) + (1*LSPA) = 4608
_ds_store_b128 v[vgprLocalWriteAddrA], v[vgprG2LA+8:vgprG2LA+8+3] offset:9216 // lwoA_0_0_2_0 = (0*LSCA)*(MT0I+PAD) + (2*LSPA) = 9216
_ds_store_b128 v[vgprLocalWriteAddrA], v[vgprG2LA+12:vgprG2LA+12+3] offset:13824 // lwoA_0_0_3_0 = (0*LSCA)*(MT0I+PAD) + (3*LSPA) = 13824

/* local write b */
_ds_store_b128 v[vgprLocalWriteAddrB], v[vgprG2LB+0:vgprG2LB+0+3] offset:0 // lwoB_0_0_0_0 = (0*LSCB)*(MT1J+PAD) + (0*LSPB) = 0
_ds_store_b128 v[vgprLocalWriteAddrB], v[vgprG2LB+4:vgprG2LB+4+3] offset:4608 // lwoB_0_0_1_0 = (0*LSCB)*(MT1J+PAD) + (1*LSPB) = 4608
_ds_store_b128 v[vgprLocalWriteAddrB], v[vgprG2LB+8:vgprG2LB+8+3] offset:9216 // lwoB_0_0_2_0 = (0*LSCB)*(MT1J+PAD) + (2*LSPB) = 9216
_ds_store_b128 v[vgprLocalWriteAddrB], v[vgprG2LB+12:vgprG2LB+12+3] offset:13824 // lwoB_0_0_3_0 = (0*LSCB)*(MT1J+PAD) + (3*LSPB) = 13824


/* local write swap a */


	;; [unrolled: 1-line block ×3, first 2 shown]
/* local write swap b */


	;; [unrolled: 1-line block ×4, first 2 shown]
s_cmp_eq_u32 s[sgprLoopCounterL] 0x1               // PGR=2 but only 1 loop
s_cbranch_scc1 label_0012                          // PGR=2 but only 1 loop


_buffer_load_b128 v[vgprG2LA+0:vgprG2LA+0+3], v[vgprGlobalReadOffsetA+0], s[sgprSrdA:sgprSrdA+3], 0, offen offset:0 // G -> Reg 0_0_0_0
_buffer_load_b128 v[vgprG2LA+4:vgprG2LA+4+3], v[vgprGlobalReadOffsetA+0], s[sgprSrdA:sgprSrdA+3], s[sgprScalarGlobalReadOffsetA+0], offen offset:0 // G -> Reg 0_0_1_0
_buffer_load_b128 v[vgprG2LA+8:vgprG2LA+8+3], v[vgprGlobalReadOffsetA+0], s[sgprSrdA:sgprSrdA+3], s[sgprScalarGlobalReadOffsetA+1], offen offset:0 // G -> Reg 0_0_2_0
_buffer_load_b128 v[vgprG2LA+12:vgprG2LA+12+3], v[vgprGlobalReadOffsetA+0], s[sgprSrdA:sgprSrdA+3], s[sgprScalarGlobalReadOffsetA+2], offen offset:0 // G -> Reg 0_0_3_0


_buffer_load_b128 v[vgprG2LB+0:vgprG2LB+0+3], v[vgprGlobalReadOffsetB+0], s[sgprSrdB:sgprSrdB+3], 0, offen offset:0 // G -> Reg 0_0_0_0
_buffer_load_b128 v[vgprG2LB+4:vgprG2LB+4+3], v[vgprGlobalReadOffsetB+0], s[sgprSrdB:sgprSrdB+3], s[sgprScalarGlobalReadOffsetB+0], offen offset:0 // G -> Reg 0_0_1_0
_buffer_load_b128 v[vgprG2LB+8:vgprG2LB+8+3], v[vgprGlobalReadOffsetB+0], s[sgprSrdB:sgprSrdB+3], s[sgprScalarGlobalReadOffsetB+1], offen offset:0 // G -> Reg 0_0_2_0
_buffer_load_b128 v[vgprG2LB+12:vgprG2LB+12+3], v[vgprGlobalReadOffsetB+0], s[sgprSrdB:sgprSrdB+3], s[sgprScalarGlobalReadOffsetB+2], offen offset:0 // G -> Reg 0_0_3_0

label_0012:                                        // 

s_waitcnt lgkmcnt(0)                               // lgkmcnt=0 vmcnt=-10prefetch wait for local write

// Skip force waitcnt0
s_barrier //


/* local read prefetch a */

_ds_load_b128 v[vgprValuA_X0_I0+0:vgprValuA_X0_I0+0+3], v[vgprLocalReadAddrA] offset:0 // L -> Reg lro=0 swapByteOffset=0 ti=32 vIdx=0 rIdx=0 oIdx=0 buffer=0 iui=0
_ds_load_b128 v[vgprValuA_X0_I0+4:vgprValuA_X0_I0+4+3], v[vgprLocalReadAddrA] offset:2304 // L -> Reg lro=0 swapByteOffset=0 ti=32 vIdx=1 rIdx=0 oIdx=0 buffer=0 iui=0
	;; [unrolled: 1-line block ×8, first 2 shown]


/* local read prefetch b */

_ds_load_b128 v[vgprValuB_X0_I0+0:vgprValuB_X0_I0+0+3], v[vgprLocalReadAddrB] offset:0 // L -> Reg lro=0 swapByteOffset=0 ti=128 vIdx=0 rIdx=0 oIdx=0 buffer=0 iui=0
_ds_load_b128 v[vgprValuB_X0_I0+4:vgprValuB_X0_I0+4+3], v[vgprLocalReadAddrB] offset:9216 // L -> Reg lro=0 swapByteOffset=0 ti=128 vIdx=1 rIdx=0 oIdx=0 buffer=0 iui=0


/* local read inc a */

/* N/A, lro->32 */
/* self.localReadDoCntA 1 self.localReadDoCntB 1 */


/* local read inc b */

/* N/A, lro->32 */
/* self.localReadDoCntA 1 self.localReadDoCntB 1 */


	;; [unrolled: 1-line block ×3, first 2 shown]
/******************************************/
/* Unrolled Loop(s) - Begin               */
/******************************************/

openLoopL_13:
s_cmp_le_u32 s[sgprLoopCounterL], 0x2              // LoopCounterL < EndCounter
s_cbranch_scc1 LoopEndL_evenexit_4                 // do not enter LoopL
LoopBeginL_1:


/******************************************/
/* Unrolled Loop 1/2 - Begin              */
/******************************************/

label_0014: // LoopCopy1 


/* Begin Each Unroll: Check VGPR.checkin for INT8 LW */


	;; [unrolled: 1-line block ×3, first 2 shown]
/* iter 0 */

/*  grEndMfmaIndex:4, lwStartMfmaIndex:16, lwEndMfmaIndex:48  */
/*  numMfmaForLR:14, barrierMfmaIndex:49, LocalWritePerMfma:0.225 */
/*  mfmaIndex:0  */
s_waitcnt lgkmcnt(0)                               // lgkmcnt=0 vmcnt=-1wait for prior local read local write old=0, new=0 newLW=0 newLR=0
v_mfma_f32_32x32x16_bf8_bf8 a[0+0:15+0], v[vgprValuB_X0_I0+0+0+0:vgprValuB_X0_I0+0+0+0+1], v[vgprValuA_X0_I0+0+0+0:vgprValuA_X0_I0+0+0+0+1], a[0:15]
/*  mfmaIndex:1  */
_ds_load_b128 v[vgprValuA_X2_I0+0:vgprValuA_X2_I0+0+3], v[vgprLocalReadAddrA] offset:32 // L -> Reg lro=32 swapByteOffset=0 ti=32 vIdx=0 rIdx=0 oIdx=0 buffer=2 iui=0

/* global read inc A loopL */
s_add_u32 s[sgprSrdA+0], s[sgprSrdA+0], s[sgprGlobalReadIncsA+0] // gra SRD += inc(lower)
s_addc_u32  s[sgprSrdA+1], s[sgprSrdA+1], 0        // gra SRD += inc(upper)
s_sub_u32 s[sgprShadowLimitA+0], s[sgprShadowLimitA+0], s[sgprGlobalReadIncsA+0] // limit -= inc)
v_mfma_f32_32x32x16_bf8_bf8 a[16+0:31+0], v[vgprValuB_X0_I0+0+0+0:vgprValuB_X0_I0+0+0+0+1], v[vgprValuA_X0_I0+4+0+0:vgprValuA_X0_I0+4+0+0+1], a[16:31]
/*  mfmaIndex:2  */
_ds_load_b128 v[vgprValuB_X2_I0+0:vgprValuB_X2_I0+0+3], v[vgprLocalReadAddrB] offset:32 // L -> Reg lro=32 swapByteOffset=0 ti=128 vIdx=0 rIdx=0 oIdx=0 buffer=2 iui=0
s_subb_u32 s[sgprShadowLimitA+1], s[sgprShadowLimitA+1], 0 // limit -= inc)
s_cmp_eq_u32 s[sgprShadowLimitA+1], 0              // are we within 2^32?
s_cmov_b32 s[sgprSrdA+2], s[sgprShadowLimitA+0]    // Move shadow to real if we are within 2^32
v_mfma_f32_32x32x16_bf8_bf8 a[32+0:47+0], v[vgprValuB_X0_I0+0+0+0:vgprValuB_X0_I0+0+0+0+1], v[vgprValuA_X0_I0+8+0+0:vgprValuA_X0_I0+8+0+0+1], a[32:47]
/*  mfmaIndex:3  */
_ds_load_b128 v[vgprValuA_X2_I0+4:vgprValuA_X2_I0+4+3], v[vgprLocalReadAddrA] offset:2336 // L -> Reg lro=32 swapByteOffset=0 ti=32 vIdx=1 rIdx=0 oIdx=0 buffer=2 iui=0

/* global read inc B loopL */
s_add_u32 s[sgprSrdB+0], s[sgprSrdB+0], s[sgprGlobalReadIncsB+0] // gra SRD += inc(lower)
s_addc_u32  s[sgprSrdB+1], s[sgprSrdB+1], 0        // gra SRD += inc(upper)
s_sub_u32 s[sgprShadowLimitB+0], s[sgprShadowLimitB+0], s[sgprGlobalReadIncsB+0] // limit -= inc)
v_mfma_f32_32x32x16_bf8_bf8 a[48+0:63+0], v[vgprValuB_X0_I0+0+0+0:vgprValuB_X0_I0+0+0+0+1], v[vgprValuA_X0_I0+12+0+0:vgprValuA_X0_I0+12+0+0+1], a[48:63]
/*  mfmaIndex:4  */
_ds_load_b128 v[vgprValuA_X2_I0+8:vgprValuA_X2_I0+8+3], v[vgprLocalReadAddrA] offset:4640 // L -> Reg lro=32 swapByteOffset=0 ti=32 vIdx=2 rIdx=0 oIdx=0 buffer=2 iui=0
s_subb_u32 s[sgprShadowLimitB+1], s[sgprShadowLimitB+1], 0 // limit -= inc)
s_cmp_eq_u32 s[sgprShadowLimitB+1], 0              // are we within 2^32?
s_cmov_b32 s[sgprSrdB+2], s[sgprShadowLimitB+0]    // Move shadow to real if we are within 2^32
v_mfma_f32_32x32x16_bf8_bf8 a[64+0:79+0], v[vgprValuB_X0_I0+0+0+0:vgprValuB_X0_I0+0+0+0+1], v[vgprValuA_X0_I0+16+0+0:vgprValuA_X0_I0+16+0+0+1], a[64:79]
/*  mfmaIndex:5  */
_ds_load_b128 v[vgprValuA_X2_I0+12:vgprValuA_X2_I0+12+3], v[vgprLocalReadAddrA] offset:6944 // L -> Reg lro=32 swapByteOffset=0 ti=32 vIdx=3 rIdx=0 oIdx=0 buffer=2 iui=0
v_mfma_f32_32x32x16_bf8_bf8 a[80+0:95+0], v[vgprValuB_X0_I0+0+0+0:vgprValuB_X0_I0+0+0+0+1], v[vgprValuA_X0_I0+20+0+0:vgprValuA_X0_I0+20+0+0+1], a[80:95]
/*  mfmaIndex:6  */
_ds_load_b128 v[vgprValuA_X2_I0+16:vgprValuA_X2_I0+16+3], v[vgprLocalReadAddrA] offset:9248 // L -> Reg lro=32 swapByteOffset=0 ti=32 vIdx=4 rIdx=0 oIdx=0 buffer=2 iui=0
	;; [unrolled: 3-line block ×5, first 2 shown]
v_mfma_f32_32x32x16_bf8_bf8 a[224+0:239+0], v[vgprValuB_X0_I0+4+0+0:vgprValuB_X0_I0+4+0+0+1], v[vgprValuA_X0_I0+24+0+0:vgprValuA_X0_I0+24+0+0+1], a[224:239]
/*  mfmaIndex:10  */
_ds_load_b128 v[vgprValuB_X2_I0+4:vgprValuB_X2_I0+4+3], v[vgprLocalReadAddrB] offset:9248 // L -> Reg lro=32 swapByteOffset=0 ti=128 vIdx=1 rIdx=0 oIdx=0 buffer=2 iui=0
/* localReadsVacancy: latencyLeft 2 */
v_mfma_f32_32x32x16_bf8_bf8 a[208+0:223+0], v[vgprValuB_X0_I0+4+0+0:vgprValuB_X0_I0+4+0+0+1], v[vgprValuA_X0_I0+20+0+0:vgprValuA_X0_I0+20+0+0+1], a[208:223]
/*  mfmaIndex:11  */
/* localReadsVacancy: latencyLeft 6 */
v_mfma_f32_32x32x16_bf8_bf8 a[192+0:207+0], v[vgprValuB_X0_I0+4+0+0:vgprValuB_X0_I0+4+0+0+1], v[vgprValuA_X0_I0+16+0+0:vgprValuA_X0_I0+16+0+0+1], a[192:207]
/*  mfmaIndex:12  */
	;; [unrolled: 3-line block ×5, first 2 shown]
/* localReadsVacancy: latencyLeft 6 */
/* 1 LDS buffer: read-sync-write */
s_waitcnt lgkmcnt(0)                               // 
s_barrier                                          // 
v_mfma_f32_32x32x16_bf8_bf8 a[128+0:143+0], v[vgprValuB_X0_I0+4+0+0:vgprValuB_X0_I0+4+0+0+1], v[vgprValuA_X0_I0+0+0+0:vgprValuA_X0_I0+0+0+0+1], a[128:143]
/* numPrefetchIter=0 */
/* dataAtIterA=-1 numReadsIterA=1 skipReadsIterA=1 readsPerIterA=8 */
/* dataAtIterB=-1 numReadsIterB=1 skipReadsIterB=1 readsPerIterB=2 */


/* iter 1 */

/*  grEndMfmaIndex:4, lwStartMfmaIndex:16, lwEndMfmaIndex:48  */
/*  numMfmaForLR:14, barrierMfmaIndex:49, LocalWritePerMfma:0.225 */
/*  mfmaIndex:16  */
s_setprio 3                                        // store optimization
/* sched write - iter 1 writesPerItem=1 */
s_waitcnt vmcnt(0)                                 // lgkmcnt=-1 vmcnt=0wait for global read before writing to local
_ds_store_b128 v[vgprLocalWriteAddrA], v[vgprG2LA+0:vgprG2LA+0+3] offset:0 // lwoA_0_0_0_0 = (0*LSCA)*(MT0I+PAD) + (0*LSPA) = 0
s_waitcnt lgkmcnt(11)                              // lgkmcnt=0 vmcnt=-1wait for prior local read local write old=0, new=11 newLW=1 newLR=10
v_mfma_f32_32x32x16_bf8_bf8 a[0+0:15+0], v[vgprValuB_X0_I0+0+2+0:vgprValuB_X0_I0+0+2+0+1], v[vgprValuA_X0_I0+0+2+0:vgprValuA_X0_I0+0+2+0+1], a[0:15]
/*  mfmaIndex:17  */
_buffer_load_b128 v[vgprG2LA+0:vgprG2LA+0+3], v[vgprGlobalReadOffsetA+0], s[sgprSrdA:sgprSrdA+3], 0, offen offset:0 // G -> Reg 0_0_0_0
v_mfma_f32_32x32x16_bf8_bf8 a[16+0:31+0], v[vgprValuB_X0_I0+0+2+0:vgprValuB_X0_I0+0+2+0+1], v[vgprValuA_X0_I0+4+2+0:vgprValuA_X0_I0+4+2+0+1], a[16:31]
/*  mfmaIndex:18  */
v_mfma_f32_32x32x16_bf8_bf8 a[32+0:47+0], v[vgprValuB_X0_I0+0+2+0:vgprValuB_X0_I0+0+2+0+1], v[vgprValuA_X0_I0+8+2+0:vgprValuA_X0_I0+8+2+0+1], a[32:47]
/*  mfmaIndex:19  */
	;; [unrolled: 2-line block ×3, first 2 shown]
/* sched write - iter 1 writesPerItem=1 */
s_waitcnt vmcnt(0)                                 // lgkmcnt=-1 vmcnt=0wait for global read before writing to local
_ds_store_b128 v[vgprLocalWriteAddrA], v[vgprG2LA+4:vgprG2LA+4+3] offset:4608 // lwoA_0_0_1_0 = (0*LSCA)*(MT0I+PAD) + (1*LSPA) = 4608
v_mfma_f32_32x32x16_bf8_bf8 a[64+0:79+0], v[vgprValuB_X0_I0+0+2+0:vgprValuB_X0_I0+0+2+0+1], v[vgprValuA_X0_I0+16+2+0:vgprValuA_X0_I0+16+2+0+1], a[64:79]
/*  mfmaIndex:21  */
_buffer_load_b128 v[vgprG2LA+4:vgprG2LA+4+3], v[vgprGlobalReadOffsetA+0], s[sgprSrdA:sgprSrdA+3], s[sgprScalarGlobalReadOffsetA+0], offen offset:0 // G -> Reg 0_0_1_0
v_mfma_f32_32x32x16_bf8_bf8 a[80+0:95+0], v[vgprValuB_X0_I0+0+2+0:vgprValuB_X0_I0+0+2+0+1], v[vgprValuA_X0_I0+20+2+0:vgprValuA_X0_I0+20+2+0+1], a[80:95]
/*  mfmaIndex:22  */
v_mfma_f32_32x32x16_bf8_bf8 a[96+0:111+0], v[vgprValuB_X0_I0+0+2+0:vgprValuB_X0_I0+0+2+0+1], v[vgprValuA_X0_I0+24+2+0:vgprValuA_X0_I0+24+2+0+1], a[96:111]
/*  mfmaIndex:23  */
	;; [unrolled: 2-line block ×3, first 2 shown]
/* sched write - iter 1 writesPerItem=1 */
s_waitcnt vmcnt(0)                                 // lgkmcnt=-1 vmcnt=0wait for global read before writing to local
_ds_store_b128 v[vgprLocalWriteAddrA], v[vgprG2LA+8:vgprG2LA+8+3] offset:9216 // lwoA_0_0_2_0 = (0*LSCA)*(MT0I+PAD) + (2*LSPA) = 9216
v_mfma_f32_32x32x16_bf8_bf8 a[240+0:255+0], v[vgprValuB_X0_I0+4+2+0:vgprValuB_X0_I0+4+2+0+1], v[vgprValuA_X0_I0+28+2+0:vgprValuA_X0_I0+28+2+0+1], a[240:255]
/*  mfmaIndex:25  */
_buffer_load_b128 v[vgprG2LA+8:vgprG2LA+8+3], v[vgprGlobalReadOffsetA+0], s[sgprSrdA:sgprSrdA+3], s[sgprScalarGlobalReadOffsetA+1], offen offset:0 // G -> Reg 0_0_2_0
v_mfma_f32_32x32x16_bf8_bf8 a[224+0:239+0], v[vgprValuB_X0_I0+4+2+0:vgprValuB_X0_I0+4+2+0+1], v[vgprValuA_X0_I0+24+2+0:vgprValuA_X0_I0+24+2+0+1], a[224:239]
/*  mfmaIndex:26  */
v_mfma_f32_32x32x16_bf8_bf8 a[208+0:223+0], v[vgprValuB_X0_I0+4+2+0:vgprValuB_X0_I0+4+2+0+1], v[vgprValuA_X0_I0+20+2+0:vgprValuA_X0_I0+20+2+0+1], a[208:223]
/*  mfmaIndex:27  */
	;; [unrolled: 2-line block ×4, first 2 shown]
/* sched write - iter 1 writesPerItem=1 */
s_waitcnt vmcnt(0)                                 // lgkmcnt=-1 vmcnt=0wait for global read before writing to local
_ds_store_b128 v[vgprLocalWriteAddrA], v[vgprG2LA+12:vgprG2LA+12+3] offset:13824 // lwoA_0_0_3_0 = (0*LSCA)*(MT0I+PAD) + (3*LSPA) = 13824
v_mfma_f32_32x32x16_bf8_bf8 a[160+0:175+0], v[vgprValuB_X0_I0+4+2+0:vgprValuB_X0_I0+4+2+0+1], v[vgprValuA_X0_I0+8+2+0:vgprValuA_X0_I0+8+2+0+1], a[160:175]
/*  mfmaIndex:30  */
_buffer_load_b128 v[vgprG2LA+12:vgprG2LA+12+3], v[vgprGlobalReadOffsetA+0], s[sgprSrdA:sgprSrdA+3], s[sgprScalarGlobalReadOffsetA+2], offen offset:0 // G -> Reg 0_0_3_0
v_mfma_f32_32x32x16_bf8_bf8 a[144+0:159+0], v[vgprValuB_X0_I0+4+2+0:vgprValuB_X0_I0+4+2+0+1], v[vgprValuA_X0_I0+4+2+0:vgprValuA_X0_I0+4+2+0+1], a[144:159]
/*  mfmaIndex:31  */
v_mfma_f32_32x32x16_bf8_bf8 a[128+0:143+0], v[vgprValuB_X0_I0+4+2+0:vgprValuB_X0_I0+4+2+0+1], v[vgprValuA_X0_I0+0+2+0:vgprValuA_X0_I0+0+2+0+1], a[128:143]
/* numPrefetchIter=0 */
/* dataAtIterA=-1 numReadsIterA=1 skipReadsIterA=1 readsPerIterA=8 */
/* dataAtIterB=-1 numReadsIterB=1 skipReadsIterB=1 readsPerIterB=2 */


/* iter 2 (reset local read pointers iteration)  (swap local read pointers iteration)  */

/*  grEndMfmaIndex:4, lwStartMfmaIndex:16, lwEndMfmaIndex:48  */
/*  numMfmaForLR:14, barrierMfmaIndex:49, LocalWritePerMfma:0.225 */
/*  mfmaIndex:32  */
v_mfma_f32_32x32x16_bf8_bf8 a[0+0:15+0], v[vgprValuB_X2_I0+0+0+0:vgprValuB_X2_I0+0+0+0+1], v[vgprValuA_X2_I0+0+0+0:vgprValuA_X2_I0+0+0+0+1], a[0:15]
/*  mfmaIndex:33  */
/* sched write - iter 2 writesPerItem=1 */
s_waitcnt vmcnt(0)                                 // lgkmcnt=-1 vmcnt=0wait for global read before writing to local
_ds_store_b128 v[vgprLocalWriteAddrB], v[vgprG2LB+0:vgprG2LB+0+3] offset:0 // lwoB_0_0_0_0 = (0*LSCB)*(MT1J+PAD) + (0*LSPB) = 0
v_mfma_f32_32x32x16_bf8_bf8 a[16+0:31+0], v[vgprValuB_X2_I0+0+0+0:vgprValuB_X2_I0+0+0+0+1], v[vgprValuA_X2_I0+4+0+0:vgprValuA_X2_I0+4+0+0+1], a[16:31]
/*  mfmaIndex:34  */
_buffer_load_b128 v[vgprG2LB+0:vgprG2LB+0+3], v[vgprGlobalReadOffsetB+0], s[sgprSrdB:sgprSrdB+3], 0, offen offset:0 // G -> Reg 0_0_0_0
v_mfma_f32_32x32x16_bf8_bf8 a[32+0:47+0], v[vgprValuB_X2_I0+0+0+0:vgprValuB_X2_I0+0+0+0+1], v[vgprValuA_X2_I0+8+0+0:vgprValuA_X2_I0+8+0+0+1], a[32:47]
/*  mfmaIndex:35  */
v_mfma_f32_32x32x16_bf8_bf8 a[48+0:63+0], v[vgprValuB_X2_I0+0+0+0:vgprValuB_X2_I0+0+0+0+1], v[vgprValuA_X2_I0+12+0+0:vgprValuA_X2_I0+12+0+0+1], a[48:63]
/*  mfmaIndex:36  */
v_mfma_f32_32x32x16_bf8_bf8 a[64+0:79+0], v[vgprValuB_X2_I0+0+0+0:vgprValuB_X2_I0+0+0+0+1], v[vgprValuA_X2_I0+16+0+0:vgprValuA_X2_I0+16+0+0+1], a[64:79]
/*  mfmaIndex:37  */
v_mfma_f32_32x32x16_bf8_bf8 a[80+0:95+0], v[vgprValuB_X2_I0+0+0+0:vgprValuB_X2_I0+0+0+0+1], v[vgprValuA_X2_I0+20+0+0:vgprValuA_X2_I0+20+0+0+1], a[80:95]
/*  mfmaIndex:38  */
/* sched write - iter 2 writesPerItem=1 */
s_waitcnt vmcnt(0)                                 // lgkmcnt=-1 vmcnt=0wait for global read before writing to local
_ds_store_b128 v[vgprLocalWriteAddrB], v[vgprG2LB+4:vgprG2LB+4+3] offset:4608 // lwoB_0_0_1_0 = (0*LSCB)*(MT1J+PAD) + (1*LSPB) = 4608
v_mfma_f32_32x32x16_bf8_bf8 a[96+0:111+0], v[vgprValuB_X2_I0+0+0+0:vgprValuB_X2_I0+0+0+0+1], v[vgprValuA_X2_I0+24+0+0:vgprValuA_X2_I0+24+0+0+1], a[96:111]
/*  mfmaIndex:39  */
_buffer_load_b128 v[vgprG2LB+4:vgprG2LB+4+3], v[vgprGlobalReadOffsetB+0], s[sgprSrdB:sgprSrdB+3], s[sgprScalarGlobalReadOffsetB+0], offen offset:0 // G -> Reg 0_0_1_0
v_mfma_f32_32x32x16_bf8_bf8 a[112+0:127+0], v[vgprValuB_X2_I0+0+0+0:vgprValuB_X2_I0+0+0+0+1], v[vgprValuA_X2_I0+28+0+0:vgprValuA_X2_I0+28+0+0+1], a[112:127]
/*  mfmaIndex:40  */
v_mfma_f32_32x32x16_bf8_bf8 a[240+0:255+0], v[vgprValuB_X2_I0+4+0+0:vgprValuB_X2_I0+4+0+0+1], v[vgprValuA_X2_I0+28+0+0:vgprValuA_X2_I0+28+0+0+1], a[240:255]
/*  mfmaIndex:41  */
	;; [unrolled: 2-line block ×3, first 2 shown]
/* sched write - iter 2 writesPerItem=1 */
s_waitcnt vmcnt(0)                                 // lgkmcnt=-1 vmcnt=0wait for global read before writing to local
_ds_store_b128 v[vgprLocalWriteAddrB], v[vgprG2LB+8:vgprG2LB+8+3] offset:9216 // lwoB_0_0_2_0 = (0*LSCB)*(MT1J+PAD) + (2*LSPB) = 9216
v_mfma_f32_32x32x16_bf8_bf8 a[208+0:223+0], v[vgprValuB_X2_I0+4+0+0:vgprValuB_X2_I0+4+0+0+1], v[vgprValuA_X2_I0+20+0+0:vgprValuA_X2_I0+20+0+0+1], a[208:223]
/*  mfmaIndex:43  */
_buffer_load_b128 v[vgprG2LB+8:vgprG2LB+8+3], v[vgprGlobalReadOffsetB+0], s[sgprSrdB:sgprSrdB+3], s[sgprScalarGlobalReadOffsetB+1], offen offset:0 // G -> Reg 0_0_2_0
v_mfma_f32_32x32x16_bf8_bf8 a[192+0:207+0], v[vgprValuB_X2_I0+4+0+0:vgprValuB_X2_I0+4+0+0+1], v[vgprValuA_X2_I0+16+0+0:vgprValuA_X2_I0+16+0+0+1], a[192:207]
/*  mfmaIndex:44  */
v_mfma_f32_32x32x16_bf8_bf8 a[176+0:191+0], v[vgprValuB_X2_I0+4+0+0:vgprValuB_X2_I0+4+0+0+1], v[vgprValuA_X2_I0+12+0+0:vgprValuA_X2_I0+12+0+0+1], a[176:191]
/*  mfmaIndex:45  */
	;; [unrolled: 2-line block ×4, first 2 shown]
/* sched write - iter 2 writesPerItem=1 */
s_waitcnt vmcnt(0)                                 // lgkmcnt=-1 vmcnt=0wait for global read before writing to local
_ds_store_b128 v[vgprLocalWriteAddrB], v[vgprG2LB+12:vgprG2LB+12+3] offset:13824 // lwoB_0_0_3_0 = (0*LSCB)*(MT1J+PAD) + (3*LSPB) = 13824

/* local read swap offsets a */

/* local read swap offsets b */

/* local read init pointers a */

/* localReadInitPointers */

/* local read init pointers b */

/* localReadInitPointers */
v_mfma_f32_32x32x16_bf8_bf8 a[128+0:143+0], v[vgprValuB_X2_I0+4+0+0:vgprValuB_X2_I0+4+0+0+1], v[vgprValuA_X2_I0+0+0+0:vgprValuA_X2_I0+0+0+0+1], a[128:143]


/* iter 3 (swap and reset local write pointers iteration)  */

/*  grEndMfmaIndex:4, lwStartMfmaIndex:16, lwEndMfmaIndex:48  */
/*  numMfmaForLR:14, barrierMfmaIndex:49, LocalWritePerMfma:0.225 */
/*  mfmaIndex:48  */
_buffer_load_b128 v[vgprG2LB+12:vgprG2LB+12+3], v[vgprGlobalReadOffsetB+0], s[sgprSrdB:sgprSrdB+3], s[sgprScalarGlobalReadOffsetB+2], offen offset:0 // G -> Reg 0_0_3_0

/* local write swap offsets a */

/* local write swap offsets b */
v_mfma_f32_32x32x16_bf8_bf8 a[0+0:15+0], v[vgprValuB_X2_I0+0+2+0:vgprValuB_X2_I0+0+2+0+1], v[vgprValuA_X2_I0+0+2+0:vgprValuA_X2_I0+0+2+0+1], a[0:15]
s_setprio 0                                        // store optimization
/*  mfmaIndex:49  */
s_waitcnt lgkmcnt(0)                               // lgkmcnt=0 vmcnt=-13wait for local write
// Skip force waitcnt0
s_barrier //
v_mfma_f32_32x32x16_bf8_bf8 a[16+0:31+0], v[vgprValuB_X2_I0+0+2+0:vgprValuB_X2_I0+0+2+0+1], v[vgprValuA_X2_I0+4+2+0:vgprValuA_X2_I0+4+2+0+1], a[16:31]
/*  mfmaIndex:50  */
s_setprio 3                                        // store optimization
_ds_load_b128 v[vgprValuA_X0_I0+0:vgprValuA_X0_I0+0+3], v[vgprLocalReadAddrA] offset:0 // L -> Reg lro=0 swapByteOffset=0 ti=32 vIdx=0 rIdx=0 oIdx=0 buffer=0 iui=0
v_mfma_f32_32x32x16_bf8_bf8 a[32+0:47+0], v[vgprValuB_X2_I0+0+2+0:vgprValuB_X2_I0+0+2+0+1], v[vgprValuA_X2_I0+8+2+0:vgprValuA_X2_I0+8+2+0+1], a[32:47]
/*  mfmaIndex:51  */
_ds_load_b128 v[vgprValuB_X0_I0+0:vgprValuB_X0_I0+0+3], v[vgprLocalReadAddrB] offset:0 // L -> Reg lro=0 swapByteOffset=0 ti=128 vIdx=0 rIdx=0 oIdx=0 buffer=0 iui=0
v_mfma_f32_32x32x16_bf8_bf8 a[48+0:63+0], v[vgprValuB_X2_I0+0+2+0:vgprValuB_X2_I0+0+2+0+1], v[vgprValuA_X2_I0+12+2+0:vgprValuA_X2_I0+12+2+0+1], a[48:63]
/*  mfmaIndex:52  */
_ds_load_b128 v[vgprValuA_X0_I0+4:vgprValuA_X0_I0+4+3], v[vgprLocalReadAddrA] offset:2304 // L -> Reg lro=0 swapByteOffset=0 ti=32 vIdx=1 rIdx=0 oIdx=0 buffer=0 iui=0
v_mfma_f32_32x32x16_bf8_bf8 a[64+0:79+0], v[vgprValuB_X2_I0+0+2+0:vgprValuB_X2_I0+0+2+0+1], v[vgprValuA_X2_I0+16+2+0:vgprValuA_X2_I0+16+2+0+1], a[64:79]
/*  mfmaIndex:53  */
_ds_load_b128 v[vgprValuA_X0_I0+8:vgprValuA_X0_I0+8+3], v[vgprLocalReadAddrA] offset:4608 // L -> Reg lro=0 swapByteOffset=0 ti=32 vIdx=2 rIdx=0 oIdx=0 buffer=0 iui=0
	;; [unrolled: 3-line block ×7, first 2 shown]
v_mfma_f32_32x32x16_bf8_bf8 a[208+0:223+0], v[vgprValuB_X2_I0+4+2+0:vgprValuB_X2_I0+4+2+0+1], v[vgprValuA_X2_I0+20+2+0:vgprValuA_X2_I0+20+2+0+1], a[208:223]
/*  mfmaIndex:59  */
_ds_load_b128 v[vgprValuB_X0_I0+4:vgprValuB_X0_I0+4+3], v[vgprLocalReadAddrB] offset:9216 // L -> Reg lro=0 swapByteOffset=0 ti=128 vIdx=1 rIdx=0 oIdx=0 buffer=0 iui=0
v_mfma_f32_32x32x16_bf8_bf8 a[192+0:207+0], v[vgprValuB_X2_I0+4+2+0:vgprValuB_X2_I0+4+2+0+1], v[vgprValuA_X2_I0+16+2+0:vgprValuA_X2_I0+16+2+0+1], a[192:207]
/*  mfmaIndex:60  */
v_mfma_f32_32x32x16_bf8_bf8 a[176+0:191+0], v[vgprValuB_X2_I0+4+2+0:vgprValuB_X2_I0+4+2+0+1], v[vgprValuA_X2_I0+12+2+0:vgprValuA_X2_I0+12+2+0+1], a[176:191]
/*  mfmaIndex:61  */
	;; [unrolled: 2-line block ×4, first 2 shown]
v_mfma_f32_32x32x16_bf8_bf8 a[128+0:143+0], v[vgprValuB_X2_I0+4+2+0:vgprValuB_X2_I0+4+2+0+1], v[vgprValuA_X2_I0+0+2+0:vgprValuA_X2_I0+0+2+0+1], a[128:143]
s_setprio 0                                        // store optimization


/******************************************/
/* Unrolled Loop - End 1/2                */
/******************************************/


/* closeLoop loopL finalLoop=0 tailLoop=0 */


/******************************************/
/* Unrolled Loop 2/2 - Begin              */
/******************************************/

label_0015: // LoopCopy2 


/* Begin Each Unroll: Check VGPR.checkin for INT8 LW */


	;; [unrolled: 1-line block ×3, first 2 shown]
/* iter 0 */

/*  grEndMfmaIndex:4, lwStartMfmaIndex:16, lwEndMfmaIndex:48  */
/*  numMfmaForLR:14, barrierMfmaIndex:49, LocalWritePerMfma:0.225 */
/*  mfmaIndex:0  */
s_waitcnt lgkmcnt(0)                               // lgkmcnt=0 vmcnt=-1wait for prior local read local write old=0, new=0 newLW=0 newLR=0
v_mfma_f32_32x32x16_bf8_bf8 a[0+0:15+0], v[vgprValuB_X0_I0+0+0+0:vgprValuB_X0_I0+0+0+0+1], v[vgprValuA_X0_I0+0+0+0:vgprValuA_X0_I0+0+0+0+1], a[0:15]
/*  mfmaIndex:1  */
_ds_load_b128 v[vgprValuA_X2_I0+0:vgprValuA_X2_I0+0+3], v[vgprLocalReadAddrA] offset:32 // L -> Reg lro=32 swapByteOffset=0 ti=32 vIdx=0 rIdx=0 oIdx=0 buffer=2 iui=0

/* global read inc A loopL */
s_add_u32 s[sgprSrdA+0], s[sgprSrdA+0], s[sgprGlobalReadIncsA+0] // gra SRD += inc(lower)
s_addc_u32  s[sgprSrdA+1], s[sgprSrdA+1], 0        // gra SRD += inc(upper)
s_sub_u32 s[sgprShadowLimitA+0], s[sgprShadowLimitA+0], s[sgprGlobalReadIncsA+0] // limit -= inc)
v_mfma_f32_32x32x16_bf8_bf8 a[16+0:31+0], v[vgprValuB_X0_I0+0+0+0:vgprValuB_X0_I0+0+0+0+1], v[vgprValuA_X0_I0+4+0+0:vgprValuA_X0_I0+4+0+0+1], a[16:31]
/*  mfmaIndex:2  */
_ds_load_b128 v[vgprValuB_X2_I0+0:vgprValuB_X2_I0+0+3], v[vgprLocalReadAddrB] offset:32 // L -> Reg lro=32 swapByteOffset=0 ti=128 vIdx=0 rIdx=0 oIdx=0 buffer=2 iui=0
s_subb_u32 s[sgprShadowLimitA+1], s[sgprShadowLimitA+1], 0 // limit -= inc)
s_cmp_eq_u32 s[sgprShadowLimitA+1], 0              // are we within 2^32?
s_cmov_b32 s[sgprSrdA+2], s[sgprShadowLimitA+0]    // Move shadow to real if we are within 2^32
v_mfma_f32_32x32x16_bf8_bf8 a[32+0:47+0], v[vgprValuB_X0_I0+0+0+0:vgprValuB_X0_I0+0+0+0+1], v[vgprValuA_X0_I0+8+0+0:vgprValuA_X0_I0+8+0+0+1], a[32:47]
/*  mfmaIndex:3  */
_ds_load_b128 v[vgprValuA_X2_I0+4:vgprValuA_X2_I0+4+3], v[vgprLocalReadAddrA] offset:2336 // L -> Reg lro=32 swapByteOffset=0 ti=32 vIdx=1 rIdx=0 oIdx=0 buffer=2 iui=0

/* global read inc B loopL */
s_add_u32 s[sgprSrdB+0], s[sgprSrdB+0], s[sgprGlobalReadIncsB+0] // gra SRD += inc(lower)
s_addc_u32  s[sgprSrdB+1], s[sgprSrdB+1], 0        // gra SRD += inc(upper)
s_sub_u32 s[sgprShadowLimitB+0], s[sgprShadowLimitB+0], s[sgprGlobalReadIncsB+0] // limit -= inc)
v_mfma_f32_32x32x16_bf8_bf8 a[48+0:63+0], v[vgprValuB_X0_I0+0+0+0:vgprValuB_X0_I0+0+0+0+1], v[vgprValuA_X0_I0+12+0+0:vgprValuA_X0_I0+12+0+0+1], a[48:63]
/*  mfmaIndex:4  */
_ds_load_b128 v[vgprValuA_X2_I0+8:vgprValuA_X2_I0+8+3], v[vgprLocalReadAddrA] offset:4640 // L -> Reg lro=32 swapByteOffset=0 ti=32 vIdx=2 rIdx=0 oIdx=0 buffer=2 iui=0
s_subb_u32 s[sgprShadowLimitB+1], s[sgprShadowLimitB+1], 0 // limit -= inc)
s_cmp_eq_u32 s[sgprShadowLimitB+1], 0              // are we within 2^32?
s_cmov_b32 s[sgprSrdB+2], s[sgprShadowLimitB+0]    // Move shadow to real if we are within 2^32
v_mfma_f32_32x32x16_bf8_bf8 a[64+0:79+0], v[vgprValuB_X0_I0+0+0+0:vgprValuB_X0_I0+0+0+0+1], v[vgprValuA_X0_I0+16+0+0:vgprValuA_X0_I0+16+0+0+1], a[64:79]
/*  mfmaIndex:5  */
_ds_load_b128 v[vgprValuA_X2_I0+12:vgprValuA_X2_I0+12+3], v[vgprLocalReadAddrA] offset:6944 // L -> Reg lro=32 swapByteOffset=0 ti=32 vIdx=3 rIdx=0 oIdx=0 buffer=2 iui=0
v_mfma_f32_32x32x16_bf8_bf8 a[80+0:95+0], v[vgprValuB_X0_I0+0+0+0:vgprValuB_X0_I0+0+0+0+1], v[vgprValuA_X0_I0+20+0+0:vgprValuA_X0_I0+20+0+0+1], a[80:95]
/*  mfmaIndex:6  */
_ds_load_b128 v[vgprValuA_X2_I0+16:vgprValuA_X2_I0+16+3], v[vgprLocalReadAddrA] offset:9248 // L -> Reg lro=32 swapByteOffset=0 ti=32 vIdx=4 rIdx=0 oIdx=0 buffer=2 iui=0
	;; [unrolled: 3-line block ×5, first 2 shown]
v_mfma_f32_32x32x16_bf8_bf8 a[224+0:239+0], v[vgprValuB_X0_I0+4+0+0:vgprValuB_X0_I0+4+0+0+1], v[vgprValuA_X0_I0+24+0+0:vgprValuA_X0_I0+24+0+0+1], a[224:239]
/*  mfmaIndex:10  */
_ds_load_b128 v[vgprValuB_X2_I0+4:vgprValuB_X2_I0+4+3], v[vgprLocalReadAddrB] offset:9248 // L -> Reg lro=32 swapByteOffset=0 ti=128 vIdx=1 rIdx=0 oIdx=0 buffer=2 iui=0
/* localReadsVacancy: latencyLeft 2 */
v_mfma_f32_32x32x16_bf8_bf8 a[208+0:223+0], v[vgprValuB_X0_I0+4+0+0:vgprValuB_X0_I0+4+0+0+1], v[vgprValuA_X0_I0+20+0+0:vgprValuA_X0_I0+20+0+0+1], a[208:223]
/*  mfmaIndex:11  */
/* localReadsVacancy: latencyLeft 6 */
v_mfma_f32_32x32x16_bf8_bf8 a[192+0:207+0], v[vgprValuB_X0_I0+4+0+0:vgprValuB_X0_I0+4+0+0+1], v[vgprValuA_X0_I0+16+0+0:vgprValuA_X0_I0+16+0+0+1], a[192:207]
/*  mfmaIndex:12  */
/* localReadsVacancy: latencyLeft 6 */
v_mfma_f32_32x32x16_bf8_bf8 a[176+0:191+0], v[vgprValuB_X0_I0+4+0+0:vgprValuB_X0_I0+4+0+0+1], v[vgprValuA_X0_I0+12+0+0:vgprValuA_X0_I0+12+0+0+1], a[176:191]
/*  mfmaIndex:13  */
/* localReadsVacancy: latencyLeft 6 */
v_mfma_f32_32x32x16_bf8_bf8 a[160+0:175+0], v[vgprValuB_X0_I0+4+0+0:vgprValuB_X0_I0+4+0+0+1], v[vgprValuA_X0_I0+8+0+0:vgprValuA_X0_I0+8+0+0+1], a[160:175]
/*  mfmaIndex:14  */
/* localReadsVacancy: latencyLeft 6 */
v_mfma_f32_32x32x16_bf8_bf8 a[144+0:159+0], v[vgprValuB_X0_I0+4+0+0:vgprValuB_X0_I0+4+0+0+1], v[vgprValuA_X0_I0+4+0+0:vgprValuA_X0_I0+4+0+0+1], a[144:159]
/*  mfmaIndex:15  */
/* localReadsVacancy: latencyLeft 6 */
/* 1 LDS buffer: read-sync-write */
s_waitcnt lgkmcnt(0)                               // 
s_barrier                                          // 
v_mfma_f32_32x32x16_bf8_bf8 a[128+0:143+0], v[vgprValuB_X0_I0+4+0+0:vgprValuB_X0_I0+4+0+0+1], v[vgprValuA_X0_I0+0+0+0:vgprValuA_X0_I0+0+0+0+1], a[128:143]
/* numPrefetchIter=0 */
/* dataAtIterA=-1 numReadsIterA=1 skipReadsIterA=1 readsPerIterA=8 */
/* dataAtIterB=-1 numReadsIterB=1 skipReadsIterB=1 readsPerIterB=2 */


/* iter 1 */

/*  grEndMfmaIndex:4, lwStartMfmaIndex:16, lwEndMfmaIndex:48  */
/*  numMfmaForLR:14, barrierMfmaIndex:49, LocalWritePerMfma:0.225 */
/*  mfmaIndex:16  */
s_setprio 3                                        // store optimization
/* sched write - iter 1 writesPerItem=1 */
s_waitcnt vmcnt(0)                                 // lgkmcnt=-1 vmcnt=0wait for global read before writing to local
_ds_store_b128 v[vgprLocalWriteAddrA], v[vgprG2LA+0:vgprG2LA+0+3] offset:0 // lwoA_0_0_0_0 = (0*LSCA)*(MT0I+PAD) + (0*LSPA) = 0
s_waitcnt lgkmcnt(11)                              // lgkmcnt=0 vmcnt=-1wait for prior local read local write old=0, new=11 newLW=1 newLR=10
v_mfma_f32_32x32x16_bf8_bf8 a[0+0:15+0], v[vgprValuB_X0_I0+0+2+0:vgprValuB_X0_I0+0+2+0+1], v[vgprValuA_X0_I0+0+2+0:vgprValuA_X0_I0+0+2+0+1], a[0:15]
/*  mfmaIndex:17  */
_buffer_load_b128 v[vgprG2LA+0:vgprG2LA+0+3], v[vgprGlobalReadOffsetA+0], s[sgprSrdA:sgprSrdA+3], 0, offen offset:0 // G -> Reg 0_0_0_0
v_mfma_f32_32x32x16_bf8_bf8 a[16+0:31+0], v[vgprValuB_X0_I0+0+2+0:vgprValuB_X0_I0+0+2+0+1], v[vgprValuA_X0_I0+4+2+0:vgprValuA_X0_I0+4+2+0+1], a[16:31]
/*  mfmaIndex:18  */
v_mfma_f32_32x32x16_bf8_bf8 a[32+0:47+0], v[vgprValuB_X0_I0+0+2+0:vgprValuB_X0_I0+0+2+0+1], v[vgprValuA_X0_I0+8+2+0:vgprValuA_X0_I0+8+2+0+1], a[32:47]
/*  mfmaIndex:19  */
	;; [unrolled: 2-line block ×3, first 2 shown]
/* sched write - iter 1 writesPerItem=1 */
s_waitcnt vmcnt(0)                                 // lgkmcnt=-1 vmcnt=0wait for global read before writing to local
_ds_store_b128 v[vgprLocalWriteAddrA], v[vgprG2LA+4:vgprG2LA+4+3] offset:4608 // lwoA_0_0_1_0 = (0*LSCA)*(MT0I+PAD) + (1*LSPA) = 4608
v_mfma_f32_32x32x16_bf8_bf8 a[64+0:79+0], v[vgprValuB_X0_I0+0+2+0:vgprValuB_X0_I0+0+2+0+1], v[vgprValuA_X0_I0+16+2+0:vgprValuA_X0_I0+16+2+0+1], a[64:79]
/*  mfmaIndex:21  */
_buffer_load_b128 v[vgprG2LA+4:vgprG2LA+4+3], v[vgprGlobalReadOffsetA+0], s[sgprSrdA:sgprSrdA+3], s[sgprScalarGlobalReadOffsetA+0], offen offset:0 // G -> Reg 0_0_1_0
v_mfma_f32_32x32x16_bf8_bf8 a[80+0:95+0], v[vgprValuB_X0_I0+0+2+0:vgprValuB_X0_I0+0+2+0+1], v[vgprValuA_X0_I0+20+2+0:vgprValuA_X0_I0+20+2+0+1], a[80:95]
/*  mfmaIndex:22  */
v_mfma_f32_32x32x16_bf8_bf8 a[96+0:111+0], v[vgprValuB_X0_I0+0+2+0:vgprValuB_X0_I0+0+2+0+1], v[vgprValuA_X0_I0+24+2+0:vgprValuA_X0_I0+24+2+0+1], a[96:111]
/*  mfmaIndex:23  */
v_mfma_f32_32x32x16_bf8_bf8 a[112+0:127+0], v[vgprValuB_X0_I0+0+2+0:vgprValuB_X0_I0+0+2+0+1], v[vgprValuA_X0_I0+28+2+0:vgprValuA_X0_I0+28+2+0+1], a[112:127]
/*  mfmaIndex:24  */
/* sched write - iter 1 writesPerItem=1 */
s_waitcnt vmcnt(0)                                 // lgkmcnt=-1 vmcnt=0wait for global read before writing to local
_ds_store_b128 v[vgprLocalWriteAddrA], v[vgprG2LA+8:vgprG2LA+8+3] offset:9216 // lwoA_0_0_2_0 = (0*LSCA)*(MT0I+PAD) + (2*LSPA) = 9216
v_mfma_f32_32x32x16_bf8_bf8 a[240+0:255+0], v[vgprValuB_X0_I0+4+2+0:vgprValuB_X0_I0+4+2+0+1], v[vgprValuA_X0_I0+28+2+0:vgprValuA_X0_I0+28+2+0+1], a[240:255]
/*  mfmaIndex:25  */
_buffer_load_b128 v[vgprG2LA+8:vgprG2LA+8+3], v[vgprGlobalReadOffsetA+0], s[sgprSrdA:sgprSrdA+3], s[sgprScalarGlobalReadOffsetA+1], offen offset:0 // G -> Reg 0_0_2_0
v_mfma_f32_32x32x16_bf8_bf8 a[224+0:239+0], v[vgprValuB_X0_I0+4+2+0:vgprValuB_X0_I0+4+2+0+1], v[vgprValuA_X0_I0+24+2+0:vgprValuA_X0_I0+24+2+0+1], a[224:239]
/*  mfmaIndex:26  */
v_mfma_f32_32x32x16_bf8_bf8 a[208+0:223+0], v[vgprValuB_X0_I0+4+2+0:vgprValuB_X0_I0+4+2+0+1], v[vgprValuA_X0_I0+20+2+0:vgprValuA_X0_I0+20+2+0+1], a[208:223]
/*  mfmaIndex:27  */
	;; [unrolled: 2-line block ×4, first 2 shown]
/* sched write - iter 1 writesPerItem=1 */
s_waitcnt vmcnt(0)                                 // lgkmcnt=-1 vmcnt=0wait for global read before writing to local
_ds_store_b128 v[vgprLocalWriteAddrA], v[vgprG2LA+12:vgprG2LA+12+3] offset:13824 // lwoA_0_0_3_0 = (0*LSCA)*(MT0I+PAD) + (3*LSPA) = 13824
v_mfma_f32_32x32x16_bf8_bf8 a[160+0:175+0], v[vgprValuB_X0_I0+4+2+0:vgprValuB_X0_I0+4+2+0+1], v[vgprValuA_X0_I0+8+2+0:vgprValuA_X0_I0+8+2+0+1], a[160:175]
/*  mfmaIndex:30  */
_buffer_load_b128 v[vgprG2LA+12:vgprG2LA+12+3], v[vgprGlobalReadOffsetA+0], s[sgprSrdA:sgprSrdA+3], s[sgprScalarGlobalReadOffsetA+2], offen offset:0 // G -> Reg 0_0_3_0
v_mfma_f32_32x32x16_bf8_bf8 a[144+0:159+0], v[vgprValuB_X0_I0+4+2+0:vgprValuB_X0_I0+4+2+0+1], v[vgprValuA_X0_I0+4+2+0:vgprValuA_X0_I0+4+2+0+1], a[144:159]
/*  mfmaIndex:31  */
v_mfma_f32_32x32x16_bf8_bf8 a[128+0:143+0], v[vgprValuB_X0_I0+4+2+0:vgprValuB_X0_I0+4+2+0+1], v[vgprValuA_X0_I0+0+2+0:vgprValuA_X0_I0+0+2+0+1], a[128:143]
/* numPrefetchIter=0 */
/* dataAtIterA=-1 numReadsIterA=1 skipReadsIterA=1 readsPerIterA=8 */
/* dataAtIterB=-1 numReadsIterB=1 skipReadsIterB=1 readsPerIterB=2 */


/* iter 2 (reset local read pointers iteration)  (swap local read pointers iteration)  */

/*  grEndMfmaIndex:4, lwStartMfmaIndex:16, lwEndMfmaIndex:48  */
/*  numMfmaForLR:14, barrierMfmaIndex:49, LocalWritePerMfma:0.225 */
/*  mfmaIndex:32  */
v_mfma_f32_32x32x16_bf8_bf8 a[0+0:15+0], v[vgprValuB_X2_I0+0+0+0:vgprValuB_X2_I0+0+0+0+1], v[vgprValuA_X2_I0+0+0+0:vgprValuA_X2_I0+0+0+0+1], a[0:15]
/*  mfmaIndex:33  */
/* sched write - iter 2 writesPerItem=1 */
s_waitcnt vmcnt(0)                                 // lgkmcnt=-1 vmcnt=0wait for global read before writing to local
_ds_store_b128 v[vgprLocalWriteAddrB], v[vgprG2LB+0:vgprG2LB+0+3] offset:0 // lwoB_0_0_0_0 = (0*LSCB)*(MT1J+PAD) + (0*LSPB) = 0
v_mfma_f32_32x32x16_bf8_bf8 a[16+0:31+0], v[vgprValuB_X2_I0+0+0+0:vgprValuB_X2_I0+0+0+0+1], v[vgprValuA_X2_I0+4+0+0:vgprValuA_X2_I0+4+0+0+1], a[16:31]
/*  mfmaIndex:34  */
_buffer_load_b128 v[vgprG2LB+0:vgprG2LB+0+3], v[vgprGlobalReadOffsetB+0], s[sgprSrdB:sgprSrdB+3], 0, offen offset:0 // G -> Reg 0_0_0_0
v_mfma_f32_32x32x16_bf8_bf8 a[32+0:47+0], v[vgprValuB_X2_I0+0+0+0:vgprValuB_X2_I0+0+0+0+1], v[vgprValuA_X2_I0+8+0+0:vgprValuA_X2_I0+8+0+0+1], a[32:47]
/*  mfmaIndex:35  */
v_mfma_f32_32x32x16_bf8_bf8 a[48+0:63+0], v[vgprValuB_X2_I0+0+0+0:vgprValuB_X2_I0+0+0+0+1], v[vgprValuA_X2_I0+12+0+0:vgprValuA_X2_I0+12+0+0+1], a[48:63]
/*  mfmaIndex:36  */
	;; [unrolled: 2-line block ×4, first 2 shown]
/* sched write - iter 2 writesPerItem=1 */
s_waitcnt vmcnt(0)                                 // lgkmcnt=-1 vmcnt=0wait for global read before writing to local
_ds_store_b128 v[vgprLocalWriteAddrB], v[vgprG2LB+4:vgprG2LB+4+3] offset:4608 // lwoB_0_0_1_0 = (0*LSCB)*(MT1J+PAD) + (1*LSPB) = 4608
v_mfma_f32_32x32x16_bf8_bf8 a[96+0:111+0], v[vgprValuB_X2_I0+0+0+0:vgprValuB_X2_I0+0+0+0+1], v[vgprValuA_X2_I0+24+0+0:vgprValuA_X2_I0+24+0+0+1], a[96:111]
/*  mfmaIndex:39  */
_buffer_load_b128 v[vgprG2LB+4:vgprG2LB+4+3], v[vgprGlobalReadOffsetB+0], s[sgprSrdB:sgprSrdB+3], s[sgprScalarGlobalReadOffsetB+0], offen offset:0 // G -> Reg 0_0_1_0
v_mfma_f32_32x32x16_bf8_bf8 a[112+0:127+0], v[vgprValuB_X2_I0+0+0+0:vgprValuB_X2_I0+0+0+0+1], v[vgprValuA_X2_I0+28+0+0:vgprValuA_X2_I0+28+0+0+1], a[112:127]
/*  mfmaIndex:40  */
v_mfma_f32_32x32x16_bf8_bf8 a[240+0:255+0], v[vgprValuB_X2_I0+4+0+0:vgprValuB_X2_I0+4+0+0+1], v[vgprValuA_X2_I0+28+0+0:vgprValuA_X2_I0+28+0+0+1], a[240:255]
/*  mfmaIndex:41  */
	;; [unrolled: 2-line block ×3, first 2 shown]
/* sched write - iter 2 writesPerItem=1 */
s_waitcnt vmcnt(0)                                 // lgkmcnt=-1 vmcnt=0wait for global read before writing to local
_ds_store_b128 v[vgprLocalWriteAddrB], v[vgprG2LB+8:vgprG2LB+8+3] offset:9216 // lwoB_0_0_2_0 = (0*LSCB)*(MT1J+PAD) + (2*LSPB) = 9216
v_mfma_f32_32x32x16_bf8_bf8 a[208+0:223+0], v[vgprValuB_X2_I0+4+0+0:vgprValuB_X2_I0+4+0+0+1], v[vgprValuA_X2_I0+20+0+0:vgprValuA_X2_I0+20+0+0+1], a[208:223]
/*  mfmaIndex:43  */
_buffer_load_b128 v[vgprG2LB+8:vgprG2LB+8+3], v[vgprGlobalReadOffsetB+0], s[sgprSrdB:sgprSrdB+3], s[sgprScalarGlobalReadOffsetB+1], offen offset:0 // G -> Reg 0_0_2_0
v_mfma_f32_32x32x16_bf8_bf8 a[192+0:207+0], v[vgprValuB_X2_I0+4+0+0:vgprValuB_X2_I0+4+0+0+1], v[vgprValuA_X2_I0+16+0+0:vgprValuA_X2_I0+16+0+0+1], a[192:207]
/*  mfmaIndex:44  */
v_mfma_f32_32x32x16_bf8_bf8 a[176+0:191+0], v[vgprValuB_X2_I0+4+0+0:vgprValuB_X2_I0+4+0+0+1], v[vgprValuA_X2_I0+12+0+0:vgprValuA_X2_I0+12+0+0+1], a[176:191]
/*  mfmaIndex:45  */
	;; [unrolled: 2-line block ×4, first 2 shown]
/* sched write - iter 2 writesPerItem=1 */
s_waitcnt vmcnt(0)                                 // lgkmcnt=-1 vmcnt=0wait for global read before writing to local
_ds_store_b128 v[vgprLocalWriteAddrB], v[vgprG2LB+12:vgprG2LB+12+3] offset:13824 // lwoB_0_0_3_0 = (0*LSCB)*(MT1J+PAD) + (3*LSPB) = 13824

/* local read swap offsets a */

/* local read swap offsets b */

/* local read init pointers a */

/* localReadInitPointers */

/* local read init pointers b */

/* localReadInitPointers */
v_mfma_f32_32x32x16_bf8_bf8 a[128+0:143+0], v[vgprValuB_X2_I0+4+0+0:vgprValuB_X2_I0+4+0+0+1], v[vgprValuA_X2_I0+0+0+0:vgprValuA_X2_I0+0+0+0+1], a[128:143]


/* iter 3 (swap and reset local write pointers iteration)  */

/*  grEndMfmaIndex:4, lwStartMfmaIndex:16, lwEndMfmaIndex:48  */
/*  numMfmaForLR:14, barrierMfmaIndex:49, LocalWritePerMfma:0.225 */
/*  mfmaIndex:48  */
_buffer_load_b128 v[vgprG2LB+12:vgprG2LB+12+3], v[vgprGlobalReadOffsetB+0], s[sgprSrdB:sgprSrdB+3], s[sgprScalarGlobalReadOffsetB+2], offen offset:0 // G -> Reg 0_0_3_0

/* local write swap offsets a */

/* local write swap offsets b */
v_mfma_f32_32x32x16_bf8_bf8 a[0+0:15+0], v[vgprValuB_X2_I0+0+2+0:vgprValuB_X2_I0+0+2+0+1], v[vgprValuA_X2_I0+0+2+0:vgprValuA_X2_I0+0+2+0+1], a[0:15]
s_setprio 0                                        // store optimization
/*  mfmaIndex:49  */
s_waitcnt lgkmcnt(0)                               // lgkmcnt=0 vmcnt=-13wait for local write
// Skip force waitcnt0
s_barrier //
v_mfma_f32_32x32x16_bf8_bf8 a[16+0:31+0], v[vgprValuB_X2_I0+0+2+0:vgprValuB_X2_I0+0+2+0+1], v[vgprValuA_X2_I0+4+2+0:vgprValuA_X2_I0+4+2+0+1], a[16:31]
/*  mfmaIndex:50  */
s_setprio 3                                        // store optimization
_ds_load_b128 v[vgprValuA_X0_I0+0:vgprValuA_X0_I0+0+3], v[vgprLocalReadAddrA] offset:0 // L -> Reg lro=0 swapByteOffset=0 ti=32 vIdx=0 rIdx=0 oIdx=0 buffer=0 iui=0
v_mfma_f32_32x32x16_bf8_bf8 a[32+0:47+0], v[vgprValuB_X2_I0+0+2+0:vgprValuB_X2_I0+0+2+0+1], v[vgprValuA_X2_I0+8+2+0:vgprValuA_X2_I0+8+2+0+1], a[32:47]
/*  mfmaIndex:51  */
_ds_load_b128 v[vgprValuB_X0_I0+0:vgprValuB_X0_I0+0+3], v[vgprLocalReadAddrB] offset:0 // L -> Reg lro=0 swapByteOffset=0 ti=128 vIdx=0 rIdx=0 oIdx=0 buffer=0 iui=0
v_mfma_f32_32x32x16_bf8_bf8 a[48+0:63+0], v[vgprValuB_X2_I0+0+2+0:vgprValuB_X2_I0+0+2+0+1], v[vgprValuA_X2_I0+12+2+0:vgprValuA_X2_I0+12+2+0+1], a[48:63]
/*  mfmaIndex:52  */
_ds_load_b128 v[vgprValuA_X0_I0+4:vgprValuA_X0_I0+4+3], v[vgprLocalReadAddrA] offset:2304 // L -> Reg lro=0 swapByteOffset=0 ti=32 vIdx=1 rIdx=0 oIdx=0 buffer=0 iui=0
v_mfma_f32_32x32x16_bf8_bf8 a[64+0:79+0], v[vgprValuB_X2_I0+0+2+0:vgprValuB_X2_I0+0+2+0+1], v[vgprValuA_X2_I0+16+2+0:vgprValuA_X2_I0+16+2+0+1], a[64:79]
/*  mfmaIndex:53  */
_ds_load_b128 v[vgprValuA_X0_I0+8:vgprValuA_X0_I0+8+3], v[vgprLocalReadAddrA] offset:4608 // L -> Reg lro=0 swapByteOffset=0 ti=32 vIdx=2 rIdx=0 oIdx=0 buffer=0 iui=0
	;; [unrolled: 3-line block ×7, first 2 shown]
v_mfma_f32_32x32x16_bf8_bf8 a[208+0:223+0], v[vgprValuB_X2_I0+4+2+0:vgprValuB_X2_I0+4+2+0+1], v[vgprValuA_X2_I0+20+2+0:vgprValuA_X2_I0+20+2+0+1], a[208:223]
/*  mfmaIndex:59  */
_ds_load_b128 v[vgprValuB_X0_I0+4:vgprValuB_X0_I0+4+3], v[vgprLocalReadAddrB] offset:9216 // L -> Reg lro=0 swapByteOffset=0 ti=128 vIdx=1 rIdx=0 oIdx=0 buffer=0 iui=0
v_mfma_f32_32x32x16_bf8_bf8 a[192+0:207+0], v[vgprValuB_X2_I0+4+2+0:vgprValuB_X2_I0+4+2+0+1], v[vgprValuA_X2_I0+16+2+0:vgprValuA_X2_I0+16+2+0+1], a[192:207]
/*  mfmaIndex:60  */
v_mfma_f32_32x32x16_bf8_bf8 a[176+0:191+0], v[vgprValuB_X2_I0+4+2+0:vgprValuB_X2_I0+4+2+0+1], v[vgprValuA_X2_I0+12+2+0:vgprValuA_X2_I0+12+2+0+1], a[176:191]
/*  mfmaIndex:61  */
	;; [unrolled: 2-line block ×4, first 2 shown]
v_mfma_f32_32x32x16_bf8_bf8 a[128+0:143+0], v[vgprValuB_X2_I0+4+2+0:vgprValuB_X2_I0+4+2+0+1], v[vgprValuA_X2_I0+0+2+0:vgprValuA_X2_I0+0+2+0+1], a[128:143]
s_setprio 0                                        // store optimization


/******************************************/
/* Unrolled Loop - End 2/2 (final)        */
/******************************************/


/* closeLoop loopL finalLoop=1 tailLoop=0 */
s_sub_u32 s[sgprLoopCounterL], s[sgprLoopCounterL], 2 // dec counterL
s_cmp_eq_i32 s[sgprLoopCounterL], 0x2              // counterL==2
s_cbranch_scc0 LoopBeginL_1                        // restart LoopL
LoopEndL_evenexit_4: // unroll loop eveniter exit
s_branch LoopEndL_2                                // exit unroll loopL (and skip second exit code)
LoopEndL_oddexit_3: // unroll loop odditer exit

/* Select high bank of LDS */
LoopEndL_2:


/* Before NLL: Check VGPR.checkin for INT8 LW */


/******************************************/
/* Ord. NoGlobalLoadLoop - Begin                                      */
/******************************************/


	;; [unrolled: 1-line block ×3, first 2 shown]
/* iter 0 */

/*  grEndMfmaIndex:4, lwStartMfmaIndex:16, lwEndMfmaIndex:48  */
/*  numMfmaForLR:14, barrierMfmaIndex:49, LocalWritePerMfma:0.225 */
/*  mfmaIndex:0  */
s_waitcnt lgkmcnt(0)                               // lgkmcnt=0 vmcnt=-1wait for prior local read local write old=0, new=0 newLW=0 newLR=0
v_mfma_f32_32x32x16_bf8_bf8 a[0+0:15+0], v[vgprValuB_X0_I0+0+0+0:vgprValuB_X0_I0+0+0+0+1], v[vgprValuA_X0_I0+0+0+0:vgprValuA_X0_I0+0+0+0+1], a[0:15]
/*  mfmaIndex:1  */
_ds_load_b128 v[vgprValuA_X2_I0+0:vgprValuA_X2_I0+0+3], v[vgprLocalReadAddrA] offset:32 // L -> Reg lro=32 swapByteOffset=0 ti=32 vIdx=0 rIdx=0 oIdx=0 buffer=2 iui=0

/* global read inc A loopL */
s_add_u32 s[sgprSrdA+0], s[sgprSrdA+0], s[sgprGlobalReadIncsA+0] // gra SRD += inc(lower)
s_addc_u32  s[sgprSrdA+1], s[sgprSrdA+1], 0        // gra SRD += inc(upper)
s_sub_u32 s[sgprShadowLimitA+0], s[sgprShadowLimitA+0], s[sgprGlobalReadIncsA+0] // limit -= inc)
v_mfma_f32_32x32x16_bf8_bf8 a[16+0:31+0], v[vgprValuB_X0_I0+0+0+0:vgprValuB_X0_I0+0+0+0+1], v[vgprValuA_X0_I0+4+0+0:vgprValuA_X0_I0+4+0+0+1], a[16:31]
/*  mfmaIndex:2  */
_ds_load_b128 v[vgprValuB_X2_I0+0:vgprValuB_X2_I0+0+3], v[vgprLocalReadAddrB] offset:32 // L -> Reg lro=32 swapByteOffset=0 ti=128 vIdx=0 rIdx=0 oIdx=0 buffer=2 iui=0
s_subb_u32 s[sgprShadowLimitA+1], s[sgprShadowLimitA+1], 0 // limit -= inc)
s_cmp_eq_u32 s[sgprShadowLimitA+1], 0              // are we within 2^32?
s_cmov_b32 s[sgprSrdA+2], s[sgprShadowLimitA+0]    // Move shadow to real if we are within 2^32
v_mfma_f32_32x32x16_bf8_bf8 a[32+0:47+0], v[vgprValuB_X0_I0+0+0+0:vgprValuB_X0_I0+0+0+0+1], v[vgprValuA_X0_I0+8+0+0:vgprValuA_X0_I0+8+0+0+1], a[32:47]
/*  mfmaIndex:3  */
_ds_load_b128 v[vgprValuA_X2_I0+4:vgprValuA_X2_I0+4+3], v[vgprLocalReadAddrA] offset:2336 // L -> Reg lro=32 swapByteOffset=0 ti=32 vIdx=1 rIdx=0 oIdx=0 buffer=2 iui=0

/* global read inc B loopL */
s_add_u32 s[sgprSrdB+0], s[sgprSrdB+0], s[sgprGlobalReadIncsB+0] // gra SRD += inc(lower)
s_addc_u32  s[sgprSrdB+1], s[sgprSrdB+1], 0        // gra SRD += inc(upper)
s_sub_u32 s[sgprShadowLimitB+0], s[sgprShadowLimitB+0], s[sgprGlobalReadIncsB+0] // limit -= inc)
v_mfma_f32_32x32x16_bf8_bf8 a[48+0:63+0], v[vgprValuB_X0_I0+0+0+0:vgprValuB_X0_I0+0+0+0+1], v[vgprValuA_X0_I0+12+0+0:vgprValuA_X0_I0+12+0+0+1], a[48:63]
/*  mfmaIndex:4  */
_ds_load_b128 v[vgprValuA_X2_I0+8:vgprValuA_X2_I0+8+3], v[vgprLocalReadAddrA] offset:4640 // L -> Reg lro=32 swapByteOffset=0 ti=32 vIdx=2 rIdx=0 oIdx=0 buffer=2 iui=0
s_subb_u32 s[sgprShadowLimitB+1], s[sgprShadowLimitB+1], 0 // limit -= inc)
s_cmp_eq_u32 s[sgprShadowLimitB+1], 0              // are we within 2^32?
s_cmov_b32 s[sgprSrdB+2], s[sgprShadowLimitB+0]    // Move shadow to real if we are within 2^32
v_mfma_f32_32x32x16_bf8_bf8 a[64+0:79+0], v[vgprValuB_X0_I0+0+0+0:vgprValuB_X0_I0+0+0+0+1], v[vgprValuA_X0_I0+16+0+0:vgprValuA_X0_I0+16+0+0+1], a[64:79]
/*  mfmaIndex:5  */
_ds_load_b128 v[vgprValuA_X2_I0+12:vgprValuA_X2_I0+12+3], v[vgprLocalReadAddrA] offset:6944 // L -> Reg lro=32 swapByteOffset=0 ti=32 vIdx=3 rIdx=0 oIdx=0 buffer=2 iui=0
v_mfma_f32_32x32x16_bf8_bf8 a[80+0:95+0], v[vgprValuB_X0_I0+0+0+0:vgprValuB_X0_I0+0+0+0+1], v[vgprValuA_X0_I0+20+0+0:vgprValuA_X0_I0+20+0+0+1], a[80:95]
/*  mfmaIndex:6  */
_ds_load_b128 v[vgprValuA_X2_I0+16:vgprValuA_X2_I0+16+3], v[vgprLocalReadAddrA] offset:9248 // L -> Reg lro=32 swapByteOffset=0 ti=32 vIdx=4 rIdx=0 oIdx=0 buffer=2 iui=0
	;; [unrolled: 3-line block ×5, first 2 shown]
v_mfma_f32_32x32x16_bf8_bf8 a[224+0:239+0], v[vgprValuB_X0_I0+4+0+0:vgprValuB_X0_I0+4+0+0+1], v[vgprValuA_X0_I0+24+0+0:vgprValuA_X0_I0+24+0+0+1], a[224:239]
/*  mfmaIndex:10  */
_ds_load_b128 v[vgprValuB_X2_I0+4:vgprValuB_X2_I0+4+3], v[vgprLocalReadAddrB] offset:9248 // L -> Reg lro=32 swapByteOffset=0 ti=128 vIdx=1 rIdx=0 oIdx=0 buffer=2 iui=0
/* localReadsVacancy: latencyLeft 2 */
v_mfma_f32_32x32x16_bf8_bf8 a[208+0:223+0], v[vgprValuB_X0_I0+4+0+0:vgprValuB_X0_I0+4+0+0+1], v[vgprValuA_X0_I0+20+0+0:vgprValuA_X0_I0+20+0+0+1], a[208:223]
/*  mfmaIndex:11  */
/* localReadsVacancy: latencyLeft 6 */
v_mfma_f32_32x32x16_bf8_bf8 a[192+0:207+0], v[vgprValuB_X0_I0+4+0+0:vgprValuB_X0_I0+4+0+0+1], v[vgprValuA_X0_I0+16+0+0:vgprValuA_X0_I0+16+0+0+1], a[192:207]
/*  mfmaIndex:12  */
	;; [unrolled: 3-line block ×5, first 2 shown]
/* localReadsVacancy: latencyLeft 6 */
/* 1 LDS buffer: read-sync-write */
s_waitcnt lgkmcnt(0)                               // 
s_barrier                                          // 
v_mfma_f32_32x32x16_bf8_bf8 a[128+0:143+0], v[vgprValuB_X0_I0+4+0+0:vgprValuB_X0_I0+4+0+0+1], v[vgprValuA_X0_I0+0+0+0:vgprValuA_X0_I0+0+0+0+1], a[128:143]
/* numPrefetchIter=0 */
/* dataAtIterA=-1 numReadsIterA=1 skipReadsIterA=1 readsPerIterA=8 */
/* dataAtIterB=-1 numReadsIterB=1 skipReadsIterB=1 readsPerIterB=2 */


/* iter 1 */

/*  grEndMfmaIndex:4, lwStartMfmaIndex:16, lwEndMfmaIndex:48  */
/*  numMfmaForLR:14, barrierMfmaIndex:49, LocalWritePerMfma:0.225 */
/*  mfmaIndex:16  */
s_setprio 3                                        // store optimization
/* sched write - iter 1 writesPerItem=1 */
s_waitcnt vmcnt(0)                                 // lgkmcnt=-1 vmcnt=0wait for global read before writing to local
_ds_store_b128 v[vgprLocalWriteAddrA], v[vgprG2LA+0:vgprG2LA+0+3] offset:0 // lwoA_0_0_0_0 = (0*LSCA)*(MT0I+PAD) + (0*LSPA) = 0
s_waitcnt lgkmcnt(11)                              // lgkmcnt=0 vmcnt=-1wait for prior local read local write old=0, new=11 newLW=1 newLR=10
v_mfma_f32_32x32x16_bf8_bf8 a[0+0:15+0], v[vgprValuB_X0_I0+0+2+0:vgprValuB_X0_I0+0+2+0+1], v[vgprValuA_X0_I0+0+2+0:vgprValuA_X0_I0+0+2+0+1], a[0:15]
/*  mfmaIndex:17  */
v_mfma_f32_32x32x16_bf8_bf8 a[16+0:31+0], v[vgprValuB_X0_I0+0+2+0:vgprValuB_X0_I0+0+2+0+1], v[vgprValuA_X0_I0+4+2+0:vgprValuA_X0_I0+4+2+0+1], a[16:31]
/*  mfmaIndex:18  */
	;; [unrolled: 2-line block ×4, first 2 shown]
/* sched write - iter 1 writesPerItem=1 */
s_waitcnt vmcnt(0)                                 // lgkmcnt=-1 vmcnt=0wait for global read before writing to local
_ds_store_b128 v[vgprLocalWriteAddrA], v[vgprG2LA+4:vgprG2LA+4+3] offset:4608 // lwoA_0_0_1_0 = (0*LSCA)*(MT0I+PAD) + (1*LSPA) = 4608
v_mfma_f32_32x32x16_bf8_bf8 a[64+0:79+0], v[vgprValuB_X0_I0+0+2+0:vgprValuB_X0_I0+0+2+0+1], v[vgprValuA_X0_I0+16+2+0:vgprValuA_X0_I0+16+2+0+1], a[64:79]
/*  mfmaIndex:21  */
v_mfma_f32_32x32x16_bf8_bf8 a[80+0:95+0], v[vgprValuB_X0_I0+0+2+0:vgprValuB_X0_I0+0+2+0+1], v[vgprValuA_X0_I0+20+2+0:vgprValuA_X0_I0+20+2+0+1], a[80:95]
/*  mfmaIndex:22  */
	;; [unrolled: 2-line block ×4, first 2 shown]
/* sched write - iter 1 writesPerItem=1 */
s_waitcnt vmcnt(0)                                 // lgkmcnt=-1 vmcnt=0wait for global read before writing to local
_ds_store_b128 v[vgprLocalWriteAddrA], v[vgprG2LA+8:vgprG2LA+8+3] offset:9216 // lwoA_0_0_2_0 = (0*LSCA)*(MT0I+PAD) + (2*LSPA) = 9216
v_mfma_f32_32x32x16_bf8_bf8 a[240+0:255+0], v[vgprValuB_X0_I0+4+2+0:vgprValuB_X0_I0+4+2+0+1], v[vgprValuA_X0_I0+28+2+0:vgprValuA_X0_I0+28+2+0+1], a[240:255]
/*  mfmaIndex:25  */
v_mfma_f32_32x32x16_bf8_bf8 a[224+0:239+0], v[vgprValuB_X0_I0+4+2+0:vgprValuB_X0_I0+4+2+0+1], v[vgprValuA_X0_I0+24+2+0:vgprValuA_X0_I0+24+2+0+1], a[224:239]
/*  mfmaIndex:26  */
	;; [unrolled: 2-line block ×5, first 2 shown]
/* sched write - iter 1 writesPerItem=1 */
s_waitcnt vmcnt(0)                                 // lgkmcnt=-1 vmcnt=0wait for global read before writing to local
_ds_store_b128 v[vgprLocalWriteAddrA], v[vgprG2LA+12:vgprG2LA+12+3] offset:13824 // lwoA_0_0_3_0 = (0*LSCA)*(MT0I+PAD) + (3*LSPA) = 13824
v_mfma_f32_32x32x16_bf8_bf8 a[160+0:175+0], v[vgprValuB_X0_I0+4+2+0:vgprValuB_X0_I0+4+2+0+1], v[vgprValuA_X0_I0+8+2+0:vgprValuA_X0_I0+8+2+0+1], a[160:175]
/*  mfmaIndex:30  */
v_mfma_f32_32x32x16_bf8_bf8 a[144+0:159+0], v[vgprValuB_X0_I0+4+2+0:vgprValuB_X0_I0+4+2+0+1], v[vgprValuA_X0_I0+4+2+0:vgprValuA_X0_I0+4+2+0+1], a[144:159]
/*  mfmaIndex:31  */
v_mfma_f32_32x32x16_bf8_bf8 a[128+0:143+0], v[vgprValuB_X0_I0+4+2+0:vgprValuB_X0_I0+4+2+0+1], v[vgprValuA_X0_I0+0+2+0:vgprValuA_X0_I0+0+2+0+1], a[128:143]
/* numPrefetchIter=0 */
/* dataAtIterA=-1 numReadsIterA=1 skipReadsIterA=1 readsPerIterA=8 */
/* dataAtIterB=-1 numReadsIterB=1 skipReadsIterB=1 readsPerIterB=2 */


/* iter 2 (reset local read pointers iteration)  (swap local read pointers iteration)  */

/*  grEndMfmaIndex:4, lwStartMfmaIndex:16, lwEndMfmaIndex:48  */
/*  numMfmaForLR:14, barrierMfmaIndex:49, LocalWritePerMfma:0.225 */
/*  mfmaIndex:32  */
v_mfma_f32_32x32x16_bf8_bf8 a[0+0:15+0], v[vgprValuB_X2_I0+0+0+0:vgprValuB_X2_I0+0+0+0+1], v[vgprValuA_X2_I0+0+0+0:vgprValuA_X2_I0+0+0+0+1], a[0:15]
/*  mfmaIndex:33  */
/* sched write - iter 2 writesPerItem=1 */
s_waitcnt vmcnt(0)                                 // lgkmcnt=-1 vmcnt=0wait for global read before writing to local
_ds_store_b128 v[vgprLocalWriteAddrB], v[vgprG2LB+0:vgprG2LB+0+3] offset:0 // lwoB_0_0_0_0 = (0*LSCB)*(MT1J+PAD) + (0*LSPB) = 0
v_mfma_f32_32x32x16_bf8_bf8 a[16+0:31+0], v[vgprValuB_X2_I0+0+0+0:vgprValuB_X2_I0+0+0+0+1], v[vgprValuA_X2_I0+4+0+0:vgprValuA_X2_I0+4+0+0+1], a[16:31]
/*  mfmaIndex:34  */
v_mfma_f32_32x32x16_bf8_bf8 a[32+0:47+0], v[vgprValuB_X2_I0+0+0+0:vgprValuB_X2_I0+0+0+0+1], v[vgprValuA_X2_I0+8+0+0:vgprValuA_X2_I0+8+0+0+1], a[32:47]
/*  mfmaIndex:35  */
	;; [unrolled: 2-line block ×5, first 2 shown]
/* sched write - iter 2 writesPerItem=1 */
s_waitcnt vmcnt(0)                                 // lgkmcnt=-1 vmcnt=0wait for global read before writing to local
_ds_store_b128 v[vgprLocalWriteAddrB], v[vgprG2LB+4:vgprG2LB+4+3] offset:4608 // lwoB_0_0_1_0 = (0*LSCB)*(MT1J+PAD) + (1*LSPB) = 4608
v_mfma_f32_32x32x16_bf8_bf8 a[96+0:111+0], v[vgprValuB_X2_I0+0+0+0:vgprValuB_X2_I0+0+0+0+1], v[vgprValuA_X2_I0+24+0+0:vgprValuA_X2_I0+24+0+0+1], a[96:111]
/*  mfmaIndex:39  */
v_mfma_f32_32x32x16_bf8_bf8 a[112+0:127+0], v[vgprValuB_X2_I0+0+0+0:vgprValuB_X2_I0+0+0+0+1], v[vgprValuA_X2_I0+28+0+0:vgprValuA_X2_I0+28+0+0+1], a[112:127]
/*  mfmaIndex:40  */
	;; [unrolled: 2-line block ×4, first 2 shown]
/* sched write - iter 2 writesPerItem=1 */
s_waitcnt vmcnt(0)                                 // lgkmcnt=-1 vmcnt=0wait for global read before writing to local
_ds_store_b128 v[vgprLocalWriteAddrB], v[vgprG2LB+8:vgprG2LB+8+3] offset:9216 // lwoB_0_0_2_0 = (0*LSCB)*(MT1J+PAD) + (2*LSPB) = 9216
v_mfma_f32_32x32x16_bf8_bf8 a[208+0:223+0], v[vgprValuB_X2_I0+4+0+0:vgprValuB_X2_I0+4+0+0+1], v[vgprValuA_X2_I0+20+0+0:vgprValuA_X2_I0+20+0+0+1], a[208:223]
/*  mfmaIndex:43  */
v_mfma_f32_32x32x16_bf8_bf8 a[192+0:207+0], v[vgprValuB_X2_I0+4+0+0:vgprValuB_X2_I0+4+0+0+1], v[vgprValuA_X2_I0+16+0+0:vgprValuA_X2_I0+16+0+0+1], a[192:207]
/*  mfmaIndex:44  */
	;; [unrolled: 2-line block ×5, first 2 shown]
/* sched write - iter 2 writesPerItem=1 */
s_waitcnt vmcnt(0)                                 // lgkmcnt=-1 vmcnt=0wait for global read before writing to local
_ds_store_b128 v[vgprLocalWriteAddrB], v[vgprG2LB+12:vgprG2LB+12+3] offset:13824 // lwoB_0_0_3_0 = (0*LSCB)*(MT1J+PAD) + (3*LSPB) = 13824

/* local read swap offsets a */

/* local read swap offsets b */

/* local read init pointers a */

/* localReadInitPointers */

/* local read init pointers b */

/* localReadInitPointers */
v_mfma_f32_32x32x16_bf8_bf8 a[128+0:143+0], v[vgprValuB_X2_I0+4+0+0:vgprValuB_X2_I0+4+0+0+1], v[vgprValuA_X2_I0+0+0+0:vgprValuA_X2_I0+0+0+0+1], a[128:143]


/* iter 3 (swap and reset local write pointers iteration)  */

/*  grEndMfmaIndex:4, lwStartMfmaIndex:16, lwEndMfmaIndex:48  */
/*  numMfmaForLR:14, barrierMfmaIndex:49, LocalWritePerMfma:0.225 */
/*  mfmaIndex:48  */

/* local write swap offsets a */

/* local write swap offsets b */
v_mfma_f32_32x32x16_bf8_bf8 a[0+0:15+0], v[vgprValuB_X2_I0+0+2+0:vgprValuB_X2_I0+0+2+0+1], v[vgprValuA_X2_I0+0+2+0:vgprValuA_X2_I0+0+2+0+1], a[0:15]
s_setprio 0                                        // store optimization
/*  mfmaIndex:49  */
s_waitcnt lgkmcnt(0)                               // lgkmcnt=0 vmcnt=-13wait for local write
// Skip force waitcnt0
s_barrier //
v_mfma_f32_32x32x16_bf8_bf8 a[16+0:31+0], v[vgprValuB_X2_I0+0+2+0:vgprValuB_X2_I0+0+2+0+1], v[vgprValuA_X2_I0+4+2+0:vgprValuA_X2_I0+4+2+0+1], a[16:31]
/*  mfmaIndex:50  */
s_setprio 3                                        // store optimization
_ds_load_b128 v[vgprValuA_X0_I0+0:vgprValuA_X0_I0+0+3], v[vgprLocalReadAddrA] offset:0 // L -> Reg lro=0 swapByteOffset=0 ti=32 vIdx=0 rIdx=0 oIdx=0 buffer=0 iui=0
v_mfma_f32_32x32x16_bf8_bf8 a[32+0:47+0], v[vgprValuB_X2_I0+0+2+0:vgprValuB_X2_I0+0+2+0+1], v[vgprValuA_X2_I0+8+2+0:vgprValuA_X2_I0+8+2+0+1], a[32:47]
/*  mfmaIndex:51  */
_ds_load_b128 v[vgprValuB_X0_I0+0:vgprValuB_X0_I0+0+3], v[vgprLocalReadAddrB] offset:0 // L -> Reg lro=0 swapByteOffset=0 ti=128 vIdx=0 rIdx=0 oIdx=0 buffer=0 iui=0
v_mfma_f32_32x32x16_bf8_bf8 a[48+0:63+0], v[vgprValuB_X2_I0+0+2+0:vgprValuB_X2_I0+0+2+0+1], v[vgprValuA_X2_I0+12+2+0:vgprValuA_X2_I0+12+2+0+1], a[48:63]
/*  mfmaIndex:52  */
_ds_load_b128 v[vgprValuA_X0_I0+4:vgprValuA_X0_I0+4+3], v[vgprLocalReadAddrA] offset:2304 // L -> Reg lro=0 swapByteOffset=0 ti=32 vIdx=1 rIdx=0 oIdx=0 buffer=0 iui=0
v_mfma_f32_32x32x16_bf8_bf8 a[64+0:79+0], v[vgprValuB_X2_I0+0+2+0:vgprValuB_X2_I0+0+2+0+1], v[vgprValuA_X2_I0+16+2+0:vgprValuA_X2_I0+16+2+0+1], a[64:79]
/*  mfmaIndex:53  */
_ds_load_b128 v[vgprValuA_X0_I0+8:vgprValuA_X0_I0+8+3], v[vgprLocalReadAddrA] offset:4608 // L -> Reg lro=0 swapByteOffset=0 ti=32 vIdx=2 rIdx=0 oIdx=0 buffer=0 iui=0
	;; [unrolled: 3-line block ×7, first 2 shown]
v_mfma_f32_32x32x16_bf8_bf8 a[208+0:223+0], v[vgprValuB_X2_I0+4+2+0:vgprValuB_X2_I0+4+2+0+1], v[vgprValuA_X2_I0+20+2+0:vgprValuA_X2_I0+20+2+0+1], a[208:223]
/*  mfmaIndex:59  */
_ds_load_b128 v[vgprValuB_X0_I0+4:vgprValuB_X0_I0+4+3], v[vgprLocalReadAddrB] offset:9216 // L -> Reg lro=0 swapByteOffset=0 ti=128 vIdx=1 rIdx=0 oIdx=0 buffer=0 iui=0
v_mfma_f32_32x32x16_bf8_bf8 a[192+0:207+0], v[vgprValuB_X2_I0+4+2+0:vgprValuB_X2_I0+4+2+0+1], v[vgprValuA_X2_I0+16+2+0:vgprValuA_X2_I0+16+2+0+1], a[192:207]
/*  mfmaIndex:60  */
v_mfma_f32_32x32x16_bf8_bf8 a[176+0:191+0], v[vgprValuB_X2_I0+4+2+0:vgprValuB_X2_I0+4+2+0+1], v[vgprValuA_X2_I0+12+2+0:vgprValuA_X2_I0+12+2+0+1], a[176:191]
/*  mfmaIndex:61  */
	;; [unrolled: 2-line block ×4, first 2 shown]
v_mfma_f32_32x32x16_bf8_bf8 a[128+0:143+0], v[vgprValuB_X2_I0+4+2+0:vgprValuB_X2_I0+4+2+0+1], v[vgprValuA_X2_I0+0+2+0:vgprValuA_X2_I0+0+2+0+1], a[128:143]
s_setprio 0                                        // store optimization

label_0016:


/******************************************/
/* Opt. NoLoadLoop Without PAP - Begin                                      */
/******************************************/

s_cmpk_eq_u32 s[sgprBeta], 0x0                     // Beta == 0
s_cbranch_scc0 OptNLL_End_17                       // Branch if Beta is not zero

s_cmp_eq_u32 s[sgprAlpha], 1.0                     // Alpha == 1.0 ?
s_cbranch_scc0 OptNLL_End_17                       // branch if alpha != 1

s_and_b32 s62, 255, s[sgprSizeI]                   // s62 = s[sgprSizeI] % 256
s_add_u32 s63, -0x1, s[sgprNumWorkGroups0]         // 
s_cmp_ge_u32 s[sgprWorkGroup0], s63                // wg0 >= nwg0-1 ?
s_cselect_b32 s62, s62, 0                          // set rMT0
s_cmpk_gt_u32 s62, 0x0                             // rMT0 > 0
s_cbranch_scc1 OptNLL_End_17                       // jump if edges required
s_and_b32 s62, 255, s[sgprSizeJ]                   // s62 = s[sgprSizeJ] % 256
s_add_u32 s63, -0x1, s[sgprNumWorkGroups1]         // 
s_cmp_ge_u32 s[sgprWorkGroup1], s63                // wg1 >= nwg1-1
s_cselect_b32 s62, s62, 0                          // set rMT1
s_cmpk_gt_u32 s62, 0x0                             // rMT1 > 0
s_cbranch_scc1 OptNLL_End_17                       // jump if edges required


	;; [unrolled: 1-line block ×4, first 2 shown]
/* iter 0 (last unrolled loop) */

/*  grEndMfmaIndex:0, lwStartMfmaIndex:48, lwEndMfmaIndex:48  */
/*  numMfmaForLR:14, barrierMfmaIndex:49, LocalWritePerMfma:0.225 */
/*  mfmaIndex:0  */
s_waitcnt lgkmcnt(0)                               // lgkmcnt=0 vmcnt=-1wait for prior local read local write old=0, new=0 newLW=0 newLR=0
v_mfma_f32_32x32x16_bf8_bf8 a[0+0:15+0], v[vgprValuB_X0_I0+0+0+0:vgprValuB_X0_I0+0+0+0+1], v[vgprValuA_X0_I0+0+0+0:vgprValuA_X0_I0+0+0+0+1], a[0:15]
/*  mfmaIndex:1  */
_ds_load_b128 v[vgprValuA_X2_I0+0:vgprValuA_X2_I0+0+3], v[vgprLocalReadAddrA] offset:32 // L -> Reg lro=32 swapByteOffset=0 ti=32 vIdx=0 rIdx=0 oIdx=0 buffer=2 iui=0
v_mfma_f32_32x32x16_bf8_bf8 a[16+0:31+0], v[vgprValuB_X0_I0+0+0+0:vgprValuB_X0_I0+0+0+0+1], v[vgprValuA_X0_I0+4+0+0:vgprValuA_X0_I0+4+0+0+1], a[16:31]
/*  mfmaIndex:2  */
_ds_load_b128 v[vgprValuB_X2_I0+0:vgprValuB_X2_I0+0+3], v[vgprLocalReadAddrB] offset:32 // L -> Reg lro=32 swapByteOffset=0 ti=128 vIdx=0 rIdx=0 oIdx=0 buffer=2 iui=0
v_mfma_f32_32x32x16_bf8_bf8 a[32+0:47+0], v[vgprValuB_X0_I0+0+0+0:vgprValuB_X0_I0+0+0+0+1], v[vgprValuA_X0_I0+8+0+0:vgprValuA_X0_I0+8+0+0+1], a[32:47]
/*  mfmaIndex:3  */
_ds_load_b128 v[vgprValuA_X2_I0+4:vgprValuA_X2_I0+4+3], v[vgprLocalReadAddrA] offset:2336 // L -> Reg lro=32 swapByteOffset=0 ti=32 vIdx=1 rIdx=0 oIdx=0 buffer=2 iui=0
v_mfma_f32_32x32x16_bf8_bf8 a[48+0:63+0], v[vgprValuB_X0_I0+0+0+0:vgprValuB_X0_I0+0+0+0+1], v[vgprValuA_X0_I0+12+0+0:vgprValuA_X0_I0+12+0+0+1], a[48:63]
/*  mfmaIndex:4  */
_ds_load_b128 v[vgprValuA_X2_I0+8:vgprValuA_X2_I0+8+3], v[vgprLocalReadAddrA] offset:4640 // L -> Reg lro=32 swapByteOffset=0 ti=32 vIdx=2 rIdx=0 oIdx=0 buffer=2 iui=0
	;; [unrolled: 3-line block ×7, first 2 shown]
v_mfma_f32_32x32x16_bf8_bf8 a[224+0:239+0], v[vgprValuB_X0_I0+4+0+0:vgprValuB_X0_I0+4+0+0+1], v[vgprValuA_X0_I0+24+0+0:vgprValuA_X0_I0+24+0+0+1], a[224:239]
/*  mfmaIndex:10  */
_ds_load_b128 v[vgprValuB_X2_I0+4:vgprValuB_X2_I0+4+3], v[vgprLocalReadAddrB] offset:9248 // L -> Reg lro=32 swapByteOffset=0 ti=128 vIdx=1 rIdx=0 oIdx=0 buffer=2 iui=0
/* localReadsVacancy: latencyLeft 2 */
v_mfma_f32_32x32x16_bf8_bf8 a[208+0:223+0], v[vgprValuB_X0_I0+4+0+0:vgprValuB_X0_I0+4+0+0+1], v[vgprValuA_X0_I0+20+0+0:vgprValuA_X0_I0+20+0+0+1], a[208:223]
/*  mfmaIndex:11  */
/* localReadsVacancy: latencyLeft 6 */
v_mfma_f32_32x32x16_bf8_bf8 a[192+0:207+0], v[vgprValuB_X0_I0+4+0+0:vgprValuB_X0_I0+4+0+0+1], v[vgprValuA_X0_I0+16+0+0:vgprValuA_X0_I0+16+0+0+1], a[192:207]
/*  mfmaIndex:12  */
	;; [unrolled: 3-line block ×5, first 2 shown]
/* localReadsVacancy: latencyLeft 6 */
v_mfma_f32_32x32x16_bf8_bf8 a[128+0:143+0], v[vgprValuB_X0_I0+4+0+0:vgprValuB_X0_I0+4+0+0+1], v[vgprValuA_X0_I0+0+0+0:vgprValuA_X0_I0+0+0+0+1], a[128:143]
/* numPrefetchIter=0 */
/* dataAtIterA=-1 numReadsIterA=1 skipReadsIterA=1 readsPerIterA=8 */
/* dataAtIterB=-1 numReadsIterB=1 skipReadsIterB=1 readsPerIterB=2 */


/* iter 1 (last unrolled loop) */

/*  grEndMfmaIndex:0, lwStartMfmaIndex:48, lwEndMfmaIndex:48  */
/*  numMfmaForLR:14, barrierMfmaIndex:49, LocalWritePerMfma:0.225 */
/*  mfmaIndex:16  */
/* localReadsVacancy: latencyLeft 6 */
s_waitcnt lgkmcnt(10)                              // lgkmcnt=0 vmcnt=-1wait for prior local read local write old=0, new=10 newLW=0 newLR=10
v_mfma_f32_32x32x16_bf8_bf8 a[0+0:15+0], v[vgprValuB_X0_I0+0+2+0:vgprValuB_X0_I0+0+2+0+1], v[vgprValuA_X0_I0+0+2+0:vgprValuA_X0_I0+0+2+0+1], a[0:15]
/*  mfmaIndex:17  */
/* localReadsVacancy: latencyLeft 6 */
v_mfma_f32_32x32x16_bf8_bf8 a[16+0:31+0], v[vgprValuB_X0_I0+0+2+0:vgprValuB_X0_I0+0+2+0+1], v[vgprValuA_X0_I0+4+2+0:vgprValuA_X0_I0+4+2+0+1], a[16:31]
/*  mfmaIndex:18  */
/* localReadsVacancy: latencyLeft 6 */
	;; [unrolled: 3-line block ×15, first 2 shown]
v_mfma_f32_32x32x16_bf8_bf8 a[128+0:143+0], v[vgprValuB_X0_I0+4+2+0:vgprValuB_X0_I0+4+2+0+1], v[vgprValuA_X0_I0+0+2+0:vgprValuA_X0_I0+0+2+0+1], a[128:143]
/* numPrefetchIter=0 */
/* dataAtIterA=-1 numReadsIterA=1 skipReadsIterA=1 readsPerIterA=8 */
/* dataAtIterB=-1 numReadsIterB=1 skipReadsIterB=1 readsPerIterB=2 */


/* iter 2 (last unrolled loop) */

/*  grEndMfmaIndex:0, lwStartMfmaIndex:48, lwEndMfmaIndex:48  */
/*  numMfmaForLR:14, barrierMfmaIndex:49, LocalWritePerMfma:0.225 */
/*  mfmaIndex:32  */
/* localReadsVacancy: latencyLeft 6 */
s_waitcnt lgkmcnt(0)                               // lgkmcnt=0 vmcnt=-1wait for prior local read local write old=0, new=0 newLW=0 newLR=0
v_mfma_f32_32x32x16_bf8_bf8 a[0+0:15+0], v[vgprValuB_X2_I0+0+0+0:vgprValuB_X2_I0+0+0+0+1], v[vgprValuA_X2_I0+0+0+0:vgprValuA_X2_I0+0+0+0+1], a[0:15]
/*  mfmaIndex:33  */
/* localReadsVacancy: latencyLeft 6 */
v_mfma_f32_32x32x16_bf8_bf8 a[16+0:31+0], v[vgprValuB_X2_I0+0+0+0:vgprValuB_X2_I0+0+0+0+1], v[vgprValuA_X2_I0+4+0+0:vgprValuA_X2_I0+4+0+0+1], a[16:31]
/*  mfmaIndex:34  */
/* localReadsVacancy: latencyLeft 6 */
	;; [unrolled: 3-line block ×15, first 2 shown]
/* 1 LDS buffer: read-sync-write */
s_waitcnt lgkmcnt(0)                               // 
s_barrier                                          // 
v_mfma_f32_32x32x16_bf8_bf8 a[128+0:143+0], v[vgprValuB_X2_I0+4+0+0:vgprValuB_X2_I0+4+0+0+1], v[vgprValuA_X2_I0+0+0+0:vgprValuA_X2_I0+0+0+0+1], a[128:143]
/* numPrefetchIter=0 */
/* dataAtIterA=0 numReadsIterA=1 skipReadsIterA=0 readsPerIterA=8 */
/* dataAtIterB=0 numReadsIterB=1 skipReadsIterB=0 readsPerIterB=2 */


/* iter 3 (last unrolled loop) */

/*  grEndMfmaIndex:0, lwStartMfmaIndex:48, lwEndMfmaIndex:48  */
/*  numMfmaForLR:14, barrierMfmaIndex:49, LocalWritePerMfma:0.225 */
/*  mfmaIndex:48  */
s_setprio 3                                        // store optimization
s_waitcnt lgkmcnt(0)                               // lgkmcnt=0 vmcnt=-1wait for prior local read local write old=0, new=0 newLW=0 newLR=0
v_mfma_f32_32x32x16_bf8_bf8 a[0+0:15+0], v[vgprValuB_X2_I0+0+2+0:vgprValuB_X2_I0+0+2+0+1], v[vgprValuA_X2_I0+0+2+0:vgprValuA_X2_I0+0+2+0+1], a[0:15]
s_setprio 0                                        // store optimization
/*  mfmaIndex:49  */
v_mfma_f32_32x32x16_bf8_bf8 a[16+0:31+0], v[vgprValuB_X2_I0+0+2+0:vgprValuB_X2_I0+0+2+0+1], v[vgprValuA_X2_I0+4+2+0:vgprValuA_X2_I0+4+2+0+1], a[16:31]
/*  mfmaIndex:50  */
s_setprio 3                                        // store optimization
v_mfma_f32_32x32x16_bf8_bf8 a[32+0:47+0], v[vgprValuB_X2_I0+0+2+0:vgprValuB_X2_I0+0+2+0+1], v[vgprValuA_X2_I0+8+2+0:vgprValuA_X2_I0+8+2+0+1], a[32:47]
/*  mfmaIndex:51  */
v_mfma_f32_32x32x16_bf8_bf8 a[48+0:63+0], v[vgprValuB_X2_I0+0+2+0:vgprValuB_X2_I0+0+2+0+1], v[vgprValuA_X2_I0+12+2+0:vgprValuA_X2_I0+12+2+0+1], a[48:63]
/*  mfmaIndex:52  */
	;; [unrolled: 2-line block ×13, first 2 shown]
v_mfma_f32_32x32x16_bf8_bf8 a[128+0:143+0], v[vgprValuB_X2_I0+4+2+0:vgprValuB_X2_I0+4+2+0+1], v[vgprValuA_X2_I0+0+2+0:vgprValuA_X2_I0+0+2+0+1], a[128:143]
/* numPrefetchIter=0 */
/* dataAtIterA=0 numReadsIterA=1 skipReadsIterA=0 readsPerIterA=8 */
/* dataAtIterB=0 numReadsIterB=1 skipReadsIterB=0 readsPerIterB=2 */

/* Stores for OptNLL */
Summation_End_OptNLL_18:
s_setprio 0                                        // optimization store
/* endSummation: add vgpr [0...116) to pool */
.set NumFullBlocks, UNDEF
.set WgmRemainder1, UNDEF
.set MagicNumberWgmRemainder1, UNDEF
.set ScalarGlobalReadOffsetB, UNDEF

/* Mapping of Acc register -> C Vgpr register */
/* computeStoreVgprs */
v_lshrrev_b32 v4, 6, v[vgprSerial]                 // v4 = v[vgprSerial] / 64
v_and_b32 v1, 63, v[vgprSerial]                    // v1 = v[vgprSerial] % 64
v_lshrrev_b32 v1, 5, v1                            // v1 = v1 / 32
v_lshlrev_b32 v1, 0x2, v1                          // thread0 * continuous_output
v_lshrrev_b32 v5, 0, v4                            // v5 = v4 / 1
v_mul_lo_u32 v5, 0x20, v5                          // wave coordination offset 1
_v_add_lshl_u32 v1, v5, v1, 0                      // coordination 1 = vwb *(wave_id1 + tid1)
v_mul_lo_u32 v2, v1, s[sgprStrideC1J]              //  offset 1
v_mul_lo_u32 v3, v1, s[sgprStrideD1J]              //  offset 1
v_and_b32 v5, 0, v4                                // v5 = v4 % 1
v_and_b32 v0, 31, v[vgprSerial]                    // v0 = v[vgprSerial] % 32
_v_add_lshl_u32 v0, v5, v0, 0                      // coordination 0 = vwa *(wave_id0 + tid0)
s_mul_i32 s34, 256, s[sgprWorkGroup0]              // wgp0 * MT0
_v_add_u32 v0, s34, v0                             // coord 0 = (tid0/MI_m)*4 + waveG0*MIB_m + MT0*SG0
s_mul_i32 s34, 256, s[sgprWorkGroup1]              // wgp1 * MT1
_v_add_u32 v1, s34, v1                             // coord 1 = (tid0%MI_m) + waveG1*MIB_n + MT1*SG1
GW_B0_E0_21:

/* edge=0, allocate 2 sgpr. perBatchTmpS=2 perBatchMaskS=0 perElementMaskS=0 elementsPerBatch=240 */
/* optSingleColVgpr=1 optSharedColVgpr=0 optSGPRUsage=BufferLoad_Mask optSrdIncForRow=1 */
s_sleep 3 // optimization: sync and wait
s_barrier

/******************************************/
/* Global Write Batch #0 (d1,d0,vc1,vc0) = */
/*    (0,0,0,0:vw1); (0,1,0,0:vw1); (0,2,0,0:vw1); (0,3,0,0:vw1); (0,4,0,0:vw1); (0,5,0,0:vw1); (0,6,0,0:vw1); (0,7,0,0:vw1); (0,0,1,0:vw1); (0,1,1,0:vw1); (0,2,1,0:vw1); (0,3,1,0:vw1); (0,4,1,0:vw1); (0,5,1,0:vw1); (0,6,1,0:vw1); (0,7,1,0:vw1); (0,0,2,0:vw1); (0,1,2,0:vw1); (0,2,2,0:vw1); (0,3,2,0:vw1); (0,4,2,0:vw1); (0,5,2,0:vw1); (0,6,2,0:vw1); (0,7,2,0:vw1); (0,0,3,0:vw1); (0,1,3,0:vw1); (0,2,3,0:vw1); (0,3,3,0:vw1); (0,4,3,0:vw1); (0,5,3,0:vw1); (0,6,3,0:vw1); (0,7,3,0:vw1); (1,0,0,0:vw1); (1,1,0,0:vw1); (1,2,0,0:vw1); (1,3,0,0:vw1); (1,4,0,0:vw1); (1,5,0,0:vw1); (1,6,0,0:vw1); (1,7,0,0:vw1); (1,0,1,0:vw1); (1,1,1,0:vw1); (1,2,1,0:vw1); (1,3,1,0:vw1); (1,4,1,0:vw1); (1,5,1,0:vw1); (1,6,1,0:vw1); (1,7,1,0:vw1); (1,0,2,0:vw1); (1,1,2,0:vw1); (1,2,2,0:vw1); (1,3,2,0:vw1); (1,4,2,0:vw1); (1,5,2,0:vw1); (1,6,2,0:vw1); (1,7,2,0:vw1); (1,0,3,0:vw1); (1,1,3,0:vw1); (1,2,3,0:vw1); (1,3,3,0:vw1); (1,4,3,0:vw1); (1,5,3,0:vw1); (1,6,3,0:vw1); (1,7,3,0:vw1); (2,0,0,0:vw1); (2,1,0,0:vw1); (2,2,0,0:vw1); (2,3,0,0:vw1); (2,4,0,0:vw1); (2,5,0,0:vw1); (2,6,0,0:vw1); (2,7,0,0:vw1); (2,0,1,0:vw1); (2,1,1,0:vw1); (2,2,1,0:vw1); (2,3,1,0:vw1); (2,4,1,0:vw1); (2,5,1,0:vw1); (2,6,1,0:vw1); (2,7,1,0:vw1); (2,0,2,0:vw1); (2,1,2,0:vw1); (2,2,2,0:vw1); (2,3,2,0:vw1); (2,4,2,0:vw1); (2,5,2,0:vw1); (2,6,2,0:vw1); (2,7,2,0:vw1); (2,0,3,0:vw1); (2,1,3,0:vw1); (2,2,3,0:vw1); (2,3,3,0:vw1); (2,4,3,0:vw1); (2,5,3,0:vw1); (2,6,3,0:vw1); (2,7,3,0:vw1); (3,0,0,0:vw1); (3,1,0,0:vw1); (3,2,0,0:vw1); (3,3,0,0:vw1); (3,4,0,0:vw1); (3,5,0,0:vw1); (3,6,0,0:vw1); (3,7,0,0:vw1); (3,0,1,0:vw1); (3,1,1,0:vw1); (3,2,1,0:vw1); (3,3,1,0:vw1); (3,4,1,0:vw1); (3,5,1,0:vw1); (3,6,1,0:vw1); (3,7,1,0:vw1); (3,0,2,0:vw1); (3,1,2,0:vw1); (3,2,2,0:vw1); (3,3,2,0:vw1); (3,4,2,0:vw1); (3,5,2,0:vw1); (3,6,2,0:vw1); (3,7,2,0:vw1); (3,0,3,0:vw1); (3,1,3,0:vw1); (3,2,3,0:vw1); (3,3,3,0:vw1); (3,4,3,0:vw1); (3,5,3,0:vw1); (3,6,3,0:vw1); (3,7,3,0:vw1); (4,0,0,0:vw1); (4,1,0,0:vw1); (4,2,0,0:vw1); (4,3,0,0:vw1); (4,4,0,0:vw1); (4,5,0,0:vw1); (4,6,0,0:vw1); (4,7,0,0:vw1); (4,0,1,0:vw1); (4,1,1,0:vw1); (4,2,1,0:vw1); (4,3,1,0:vw1); (4,4,1,0:vw1); (4,5,1,0:vw1); (4,6,1,0:vw1); (4,7,1,0:vw1); (4,0,2,0:vw1); (4,1,2,0:vw1); (4,2,2,0:vw1); (4,3,2,0:vw1); (4,4,2,0:vw1); (4,5,2,0:vw1); (4,6,2,0:vw1); (4,7,2,0:vw1); (4,0,3,0:vw1); (4,1,3,0:vw1); (4,2,3,0:vw1); (4,3,3,0:vw1); (4,4,3,0:vw1); (4,5,3,0:vw1); (4,6,3,0:vw1); (4,7,3,0:vw1); (5,0,0,0:vw1); (5,1,0,0:vw1); (5,2,0,0:vw1); (5,3,0,0:vw1); (5,4,0,0:vw1); (5,5,0,0:vw1); (5,6,0,0:vw1); (5,7,0,0:vw1); (5,0,1,0:vw1); (5,1,1,0:vw1); (5,2,1,0:vw1); (5,3,1,0:vw1); (5,4,1,0:vw1); (5,5,1,0:vw1); (5,6,1,0:vw1); (5,7,1,0:vw1); (5,0,2,0:vw1); (5,1,2,0:vw1); (5,2,2,0:vw1); (5,3,2,0:vw1); (5,4,2,0:vw1); (5,5,2,0:vw1); (5,6,2,0:vw1); (5,7,2,0:vw1); (5,0,3,0:vw1); (5,1,3,0:vw1); (5,2,3,0:vw1); (5,3,3,0:vw1); (5,4,3,0:vw1); (5,5,3,0:vw1); (5,6,3,0:vw1); (5,7,3,0:vw1); (6,0,0,0:vw1); (6,1,0,0:vw1); (6,2,0,0:vw1); (6,3,0,0:vw1); (6,4,0,0:vw1); (6,5,0,0:vw1); (6,6,0,0:vw1); (6,7,0,0:vw1); (6,0,1,0:vw1); (6,1,1,0:vw1); (6,2,1,0:vw1); (6,3,1,0:vw1); (6,4,1,0:vw1); (6,5,1,0:vw1); (6,6,1,0:vw1); (6,7,1,0:vw1); (6,0,2,0:vw1); (6,1,2,0:vw1); (6,2,2,0:vw1); (6,3,2,0:vw1); (6,4,2,0:vw1); (6,5,2,0:vw1); (6,6,2,0:vw1); (6,7,2,0:vw1); (6,0,3,0:vw1); (6,1,3,0:vw1); (6,2,3,0:vw1); (6,3,3,0:vw1); (6,4,3,0:vw1); (6,5,3,0:vw1); (6,6,3,0:vw1); (6,7,3,0:vw1); (7,0,0,0:vw1); (7,1,0,0:vw1); (7,2,0,0:vw1); (7,3,0,0:vw1); (7,4,0,0:vw1); (7,5,0,0:vw1); (7,6,0,0:vw1); (7,7,0,0:vw1); (7,0,1,0:vw1); (7,1,1,0:vw1); (7,2,1,0:vw1); (7,3,1,0:vw1); (7,4,1,0:vw1); (7,5,1,0:vw1); (7,6,1,0:vw1); (7,7,1,0:vw1) */
/******************************************/

/* calc coords, apply mask, and issue loads (if necessary) */
/* (d1,vc1,d0,vc0)=(0,0,0,0) */
/* (d1,vc1,d0,vc0)=(0,0,1,0) */
	;; [unrolled: 1-line block ×240, first 2 shown]
_v_add_lshl_u32 v11, v3, v0, 0x0                   // optSingleColVgpr scaleToBpe: sharedAddrVgpr <- cinRowPtr + coord0, scaled by BPE. BSHERE:coord0=0, coord0Vgpr=0
v_accvgpr_read_b32 v[vgprValuC+13], acc0 // copy acc to vreg[0]
v_accvgpr_read_b32 v[vgprValuC+14], acc16 // copy acc to vreg[1]
v_accvgpr_read_b32 v[vgprValuC+15], acc32 // copy acc to vreg[2]
v_accvgpr_read_b32 v[vgprValuC+16], acc48 // copy acc to vreg[3]
v_accvgpr_read_b32 v[vgprValuC+17], acc64 // copy acc to vreg[4]
v_accvgpr_read_b32 v[vgprValuC+18], acc80 // copy acc to vreg[5]
v_accvgpr_read_b32 v[vgprValuC+19], acc96 // copy acc to vreg[6]
v_accvgpr_read_b32 v[vgprValuC+20], acc112 // copy acc to vreg[7]
v_accvgpr_read_b32 v[vgprValuC+21], acc1 // copy acc to vreg[8]
v_accvgpr_read_b32 v[vgprValuC+22], acc17 // copy acc to vreg[9]
v_accvgpr_read_b32 v[vgprValuC+23], acc33 // copy acc to vreg[10]
v_accvgpr_read_b32 v[vgprValuC+24], acc49 // copy acc to vreg[11]
v_accvgpr_read_b32 v[vgprValuC+25], acc65 // copy acc to vreg[12]
v_accvgpr_read_b32 v[vgprValuC+26], acc81 // copy acc to vreg[13]
v_accvgpr_read_b32 v[vgprValuC+27], acc97 // copy acc to vreg[14]
v_accvgpr_read_b32 v[vgprValuC+28], acc113 // copy acc to vreg[15]
v_accvgpr_read_b32 v[vgprValuC+29], acc2 // copy acc to vreg[16]
v_accvgpr_read_b32 v[vgprValuC+30], acc18 // copy acc to vreg[17]
v_accvgpr_read_b32 v[vgprValuC+31], acc34 // copy acc to vreg[18]
v_accvgpr_read_b32 v[vgprValuC+32], acc50 // copy acc to vreg[19]
v_accvgpr_read_b32 v[vgprValuC+33], acc66 // copy acc to vreg[20]
v_accvgpr_read_b32 v[vgprValuC+34], acc82 // copy acc to vreg[21]
v_accvgpr_read_b32 v[vgprValuC+35], acc98 // copy acc to vreg[22]
v_accvgpr_read_b32 v[vgprValuC+36], acc114 // copy acc to vreg[23]
v_accvgpr_read_b32 v[vgprValuC+37], acc3 // copy acc to vreg[24]
v_accvgpr_read_b32 v[vgprValuC+38], acc19 // copy acc to vreg[25]
v_accvgpr_read_b32 v[vgprValuC+39], acc35 // copy acc to vreg[26]
v_accvgpr_read_b32 v[vgprValuC+40], acc51 // copy acc to vreg[27]
v_accvgpr_read_b32 v[vgprValuC+41], acc67 // copy acc to vreg[28]
v_accvgpr_read_b32 v[vgprValuC+42], acc83 // copy acc to vreg[29]
v_accvgpr_read_b32 v[vgprValuC+43], acc99 // copy acc to vreg[30]
v_accvgpr_read_b32 v[vgprValuC+44], acc115 // copy acc to vreg[31]
v_accvgpr_read_b32 v[vgprValuC+45], acc4 // copy acc to vreg[32]
v_accvgpr_read_b32 v[vgprValuC+46], acc20 // copy acc to vreg[33]
v_accvgpr_read_b32 v[vgprValuC+47], acc36 // copy acc to vreg[34]
v_accvgpr_read_b32 v[vgprValuC+48], acc52 // copy acc to vreg[35]
v_accvgpr_read_b32 v[vgprValuC+49], acc68 // copy acc to vreg[36]
v_accvgpr_read_b32 v[vgprValuC+50], acc84 // copy acc to vreg[37]
v_accvgpr_read_b32 v[vgprValuC+51], acc100 // copy acc to vreg[38]
v_accvgpr_read_b32 v[vgprValuC+52], acc116 // copy acc to vreg[39]
v_accvgpr_read_b32 v[vgprValuC+53], acc5 // copy acc to vreg[40]
v_accvgpr_read_b32 v[vgprValuC+54], acc21 // copy acc to vreg[41]
v_accvgpr_read_b32 v[vgprValuC+55], acc37 // copy acc to vreg[42]
v_accvgpr_read_b32 v[vgprValuC+56], acc53 // copy acc to vreg[43]
v_accvgpr_read_b32 v[vgprValuC+57], acc69 // copy acc to vreg[44]
v_accvgpr_read_b32 v[vgprValuC+58], acc85 // copy acc to vreg[45]
v_accvgpr_read_b32 v[vgprValuC+59], acc101 // copy acc to vreg[46]
v_accvgpr_read_b32 v[vgprValuC+60], acc117 // copy acc to vreg[47]
v_accvgpr_read_b32 v[vgprValuC+61], acc6 // copy acc to vreg[48]
v_accvgpr_read_b32 v[vgprValuC+62], acc22 // copy acc to vreg[49]
v_accvgpr_read_b32 v[vgprValuC+63], acc38 // copy acc to vreg[50]
v_accvgpr_read_b32 v[vgprValuC+64], acc54 // copy acc to vreg[51]
v_accvgpr_read_b32 v[vgprValuC+65], acc70 // copy acc to vreg[52]
v_accvgpr_read_b32 v[vgprValuC+66], acc86 // copy acc to vreg[53]
v_accvgpr_read_b32 v[vgprValuC+67], acc102 // copy acc to vreg[54]
v_accvgpr_read_b32 v[vgprValuC+68], acc118 // copy acc to vreg[55]
v_accvgpr_read_b32 v[vgprValuC+69], acc7 // copy acc to vreg[56]
v_accvgpr_read_b32 v[vgprValuC+70], acc23 // copy acc to vreg[57]
v_accvgpr_read_b32 v[vgprValuC+71], acc39 // copy acc to vreg[58]
v_accvgpr_read_b32 v[vgprValuC+72], acc55 // copy acc to vreg[59]
v_accvgpr_read_b32 v[vgprValuC+73], acc71 // copy acc to vreg[60]
v_accvgpr_read_b32 v[vgprValuC+74], acc87 // copy acc to vreg[61]
v_accvgpr_read_b32 v[vgprValuC+75], acc103 // copy acc to vreg[62]
v_accvgpr_read_b32 v[vgprValuC+76], acc119 // copy acc to vreg[63]
v_accvgpr_read_b32 v[vgprValuC+77], acc8 // copy acc to vreg[64]
v_accvgpr_read_b32 v[vgprValuC+78], acc24 // copy acc to vreg[65]
v_accvgpr_read_b32 v[vgprValuC+79], acc40 // copy acc to vreg[66]
v_accvgpr_read_b32 v[vgprValuC+80], acc56 // copy acc to vreg[67]
v_accvgpr_read_b32 v[vgprValuC+81], acc72 // copy acc to vreg[68]
v_accvgpr_read_b32 v[vgprValuC+82], acc88 // copy acc to vreg[69]
v_accvgpr_read_b32 v[vgprValuC+83], acc104 // copy acc to vreg[70]
v_accvgpr_read_b32 v[vgprValuC+84], acc120 // copy acc to vreg[71]
v_accvgpr_read_b32 v[vgprValuC+85], acc9 // copy acc to vreg[72]
v_accvgpr_read_b32 v[vgprValuC+86], acc25 // copy acc to vreg[73]
v_accvgpr_read_b32 v[vgprValuC+87], acc41 // copy acc to vreg[74]
v_accvgpr_read_b32 v[vgprValuC+88], acc57 // copy acc to vreg[75]
v_accvgpr_read_b32 v[vgprValuC+89], acc73 // copy acc to vreg[76]
v_accvgpr_read_b32 v[vgprValuC+90], acc89 // copy acc to vreg[77]
v_accvgpr_read_b32 v[vgprValuC+91], acc105 // copy acc to vreg[78]
v_accvgpr_read_b32 v[vgprValuC+92], acc121 // copy acc to vreg[79]
v_accvgpr_read_b32 v[vgprValuC+93], acc10 // copy acc to vreg[80]
v_accvgpr_read_b32 v[vgprValuC+94], acc26 // copy acc to vreg[81]
v_accvgpr_read_b32 v[vgprValuC+95], acc42 // copy acc to vreg[82]
v_accvgpr_read_b32 v[vgprValuC+96], acc58 // copy acc to vreg[83]
v_accvgpr_read_b32 v[vgprValuC+97], acc74 // copy acc to vreg[84]
v_accvgpr_read_b32 v[vgprValuC+98], acc90 // copy acc to vreg[85]
v_accvgpr_read_b32 v[vgprValuC+99], acc106 // copy acc to vreg[86]
v_accvgpr_read_b32 v[vgprValuC+100], acc122 // copy acc to vreg[87]
v_accvgpr_read_b32 v[vgprValuC+101], acc11 // copy acc to vreg[88]
v_accvgpr_read_b32 v[vgprValuC+102], acc27 // copy acc to vreg[89]
v_accvgpr_read_b32 v[vgprValuC+103], acc43 // copy acc to vreg[90]
v_accvgpr_read_b32 v[vgprValuC+104], acc59 // copy acc to vreg[91]
v_accvgpr_read_b32 v[vgprValuC+105], acc75 // copy acc to vreg[92]
v_accvgpr_read_b32 v[vgprValuC+106], acc91 // copy acc to vreg[93]
v_accvgpr_read_b32 v[vgprValuC+107], acc107 // copy acc to vreg[94]
v_accvgpr_read_b32 v[vgprValuC+108], acc123 // copy acc to vreg[95]
v_accvgpr_read_b32 v[vgprValuC+109], acc12 // copy acc to vreg[96]
v_accvgpr_read_b32 v[vgprValuC+110], acc28 // copy acc to vreg[97]
v_accvgpr_read_b32 v[vgprValuC+111], acc44 // copy acc to vreg[98]
v_accvgpr_read_b32 v[vgprValuC+112], acc60 // copy acc to vreg[99]
v_accvgpr_read_b32 v[vgprValuC+113], acc76 // copy acc to vreg[100]
v_accvgpr_read_b32 v[vgprValuC+114], acc92 // copy acc to vreg[101]
v_accvgpr_read_b32 v[vgprValuC+115], acc108 // copy acc to vreg[102]
v_accvgpr_read_b32 v[vgprValuC+119], acc124 // copy acc to vreg[103]
v_accvgpr_read_b32 v[vgprValuC+120], acc13 // copy acc to vreg[104]
v_accvgpr_read_b32 v[vgprValuC+121], acc29 // copy acc to vreg[105]
v_accvgpr_read_b32 v[vgprValuC+122], acc45 // copy acc to vreg[106]
v_accvgpr_read_b32 v[vgprValuC+123], acc61 // copy acc to vreg[107]
v_accvgpr_read_b32 v[vgprValuC+124], acc77 // copy acc to vreg[108]
v_accvgpr_read_b32 v[vgprValuC+125], acc93 // copy acc to vreg[109]
v_accvgpr_read_b32 v[vgprValuC+126], acc109 // copy acc to vreg[110]
v_accvgpr_read_b32 v[vgprValuC+127], acc125 // copy acc to vreg[111]
v_accvgpr_read_b32 v[vgprValuC+128], acc14 // copy acc to vreg[112]
v_accvgpr_read_b32 v[vgprValuC+129], acc30 // copy acc to vreg[113]
v_accvgpr_read_b32 v[vgprValuC+130], acc46 // copy acc to vreg[114]
v_accvgpr_read_b32 v[vgprValuC+131], acc62 // copy acc to vreg[115]
v_accvgpr_read_b32 v[vgprValuC+132], acc78 // copy acc to vreg[116]
v_accvgpr_read_b32 v[vgprValuC+133], acc94 // copy acc to vreg[117]
v_accvgpr_read_b32 v[vgprValuC+134], acc110 // copy acc to vreg[118]
v_accvgpr_read_b32 v[vgprValuC+135], acc126 // copy acc to vreg[119]
v_accvgpr_read_b32 v[vgprValuC+136], acc15 // copy acc to vreg[120]
v_accvgpr_read_b32 v[vgprValuC+137], acc31 // copy acc to vreg[121]
v_accvgpr_read_b32 v[vgprValuC+138], acc47 // copy acc to vreg[122]
v_accvgpr_read_b32 v[vgprValuC+139], acc63 // copy acc to vreg[123]
v_accvgpr_read_b32 v[vgprValuC+140], acc79 // copy acc to vreg[124]
v_accvgpr_read_b32 v[vgprValuC+141], acc95 // copy acc to vreg[125]
v_accvgpr_read_b32 v[vgprValuC+142], acc111 // copy acc to vreg[126]
v_accvgpr_read_b32 v[vgprValuC+143], acc127 // copy acc to vreg[127]
v_accvgpr_read_b32 v[vgprValuC+144], acc128 // copy acc to vreg[128]
v_accvgpr_read_b32 v[vgprValuC+145], acc144 // copy acc to vreg[129]
v_accvgpr_read_b32 v[vgprValuC+146], acc160 // copy acc to vreg[130]
v_accvgpr_read_b32 v[vgprValuC+147], acc176 // copy acc to vreg[131]
v_accvgpr_read_b32 v[vgprValuC+148], acc192 // copy acc to vreg[132]
v_accvgpr_read_b32 v[vgprValuC+149], acc208 // copy acc to vreg[133]
v_accvgpr_read_b32 v[vgprValuC+150], acc224 // copy acc to vreg[134]
v_accvgpr_read_b32 v[vgprValuC+151], acc240 // copy acc to vreg[135]
v_accvgpr_read_b32 v[vgprValuC+152], acc129 // copy acc to vreg[136]
v_accvgpr_read_b32 v[vgprValuC+153], acc145 // copy acc to vreg[137]
v_accvgpr_read_b32 v[vgprValuC+154], acc161 // copy acc to vreg[138]
v_accvgpr_read_b32 v[vgprValuC+155], acc177 // copy acc to vreg[139]
v_accvgpr_read_b32 v[vgprValuC+156], acc193 // copy acc to vreg[140]
v_accvgpr_read_b32 v[vgprValuC+157], acc209 // copy acc to vreg[141]
v_accvgpr_read_b32 v[vgprValuC+158], acc225 // copy acc to vreg[142]
v_accvgpr_read_b32 v[vgprValuC+159], acc241 // copy acc to vreg[143]
v_accvgpr_read_b32 v[vgprValuC+160], acc130 // copy acc to vreg[144]
v_accvgpr_read_b32 v[vgprValuC+161], acc146 // copy acc to vreg[145]
v_accvgpr_read_b32 v[vgprValuC+162], acc162 // copy acc to vreg[146]
v_accvgpr_read_b32 v[vgprValuC+163], acc178 // copy acc to vreg[147]
v_accvgpr_read_b32 v[vgprValuC+164], acc194 // copy acc to vreg[148]
v_accvgpr_read_b32 v[vgprValuC+165], acc210 // copy acc to vreg[149]
v_accvgpr_read_b32 v[vgprValuC+166], acc226 // copy acc to vreg[150]
v_accvgpr_read_b32 v[vgprValuC+167], acc242 // copy acc to vreg[151]
v_accvgpr_read_b32 v[vgprValuC+168], acc131 // copy acc to vreg[152]
v_accvgpr_read_b32 v[vgprValuC+169], acc147 // copy acc to vreg[153]
v_accvgpr_read_b32 v[vgprValuC+170], acc163 // copy acc to vreg[154]
v_accvgpr_read_b32 v[vgprValuC+171], acc179 // copy acc to vreg[155]
v_accvgpr_read_b32 v[vgprValuC+172], acc195 // copy acc to vreg[156]
v_accvgpr_read_b32 v[vgprValuC+173], acc211 // copy acc to vreg[157]
v_accvgpr_read_b32 v[vgprValuC+174], acc227 // copy acc to vreg[158]
v_accvgpr_read_b32 v[vgprValuC+175], acc243 // copy acc to vreg[159]
v_accvgpr_read_b32 v[vgprValuC+176], acc132 // copy acc to vreg[160]
v_accvgpr_read_b32 v[vgprValuC+177], acc148 // copy acc to vreg[161]
v_accvgpr_read_b32 v[vgprValuC+178], acc164 // copy acc to vreg[162]
v_accvgpr_read_b32 v[vgprValuC+179], acc180 // copy acc to vreg[163]
v_accvgpr_read_b32 v[vgprValuC+180], acc196 // copy acc to vreg[164]
v_accvgpr_read_b32 v[vgprValuC+181], acc212 // copy acc to vreg[165]
v_accvgpr_read_b32 v[vgprValuC+182], acc228 // copy acc to vreg[166]
v_accvgpr_read_b32 v[vgprValuC+183], acc244 // copy acc to vreg[167]
v_accvgpr_read_b32 v[vgprValuC+184], acc133 // copy acc to vreg[168]
v_accvgpr_read_b32 v[vgprValuC+185], acc149 // copy acc to vreg[169]
v_accvgpr_read_b32 v[vgprValuC+186], acc165 // copy acc to vreg[170]
v_accvgpr_read_b32 v[vgprValuC+187], acc181 // copy acc to vreg[171]
v_accvgpr_read_b32 v[vgprValuC+188], acc197 // copy acc to vreg[172]
v_accvgpr_read_b32 v[vgprValuC+189], acc213 // copy acc to vreg[173]
v_accvgpr_read_b32 v[vgprValuC+190], acc229 // copy acc to vreg[174]
v_accvgpr_read_b32 v[vgprValuC+191], acc245 // copy acc to vreg[175]
v_accvgpr_read_b32 v[vgprValuC+192], acc134 // copy acc to vreg[176]
v_accvgpr_read_b32 v[vgprValuC+193], acc150 // copy acc to vreg[177]
v_accvgpr_read_b32 v[vgprValuC+194], acc166 // copy acc to vreg[178]
v_accvgpr_read_b32 v[vgprValuC+195], acc182 // copy acc to vreg[179]
v_accvgpr_read_b32 v[vgprValuC+196], acc198 // copy acc to vreg[180]
v_accvgpr_read_b32 v[vgprValuC+197], acc214 // copy acc to vreg[181]
v_accvgpr_read_b32 v[vgprValuC+198], acc230 // copy acc to vreg[182]
v_accvgpr_read_b32 v[vgprValuC+199], acc246 // copy acc to vreg[183]
v_accvgpr_read_b32 v[vgprValuC+200], acc135 // copy acc to vreg[184]
v_accvgpr_read_b32 v[vgprValuC+201], acc151 // copy acc to vreg[185]
v_accvgpr_read_b32 v[vgprValuC+202], acc167 // copy acc to vreg[186]
v_accvgpr_read_b32 v[vgprValuC+203], acc183 // copy acc to vreg[187]
v_accvgpr_read_b32 v[vgprValuC+204], acc199 // copy acc to vreg[188]
v_accvgpr_read_b32 v[vgprValuC+205], acc215 // copy acc to vreg[189]
v_accvgpr_read_b32 v[vgprValuC+206], acc231 // copy acc to vreg[190]
v_accvgpr_read_b32 v[vgprValuC+207], acc247 // copy acc to vreg[191]
v_accvgpr_read_b32 v[vgprValuC+208], acc136 // copy acc to vreg[192]
v_accvgpr_read_b32 v[vgprValuC+209], acc152 // copy acc to vreg[193]
v_accvgpr_read_b32 v[vgprValuC+210], acc168 // copy acc to vreg[194]
v_accvgpr_read_b32 v[vgprValuC+211], acc184 // copy acc to vreg[195]
v_accvgpr_read_b32 v[vgprValuC+212], acc200 // copy acc to vreg[196]
v_accvgpr_read_b32 v[vgprValuC+213], acc216 // copy acc to vreg[197]
v_accvgpr_read_b32 v[vgprValuC+214], acc232 // copy acc to vreg[198]
v_accvgpr_read_b32 v[vgprValuC+215], acc248 // copy acc to vreg[199]
v_accvgpr_read_b32 v[vgprValuC+216], acc137 // copy acc to vreg[200]
v_accvgpr_read_b32 v[vgprValuC+217], acc153 // copy acc to vreg[201]
v_accvgpr_read_b32 v[vgprValuC+218], acc169 // copy acc to vreg[202]
v_accvgpr_read_b32 v[vgprValuC+219], acc185 // copy acc to vreg[203]
v_accvgpr_read_b32 v[vgprValuC+220], acc201 // copy acc to vreg[204]
v_accvgpr_read_b32 v[vgprValuC+221], acc217 // copy acc to vreg[205]
v_accvgpr_read_b32 v[vgprValuC+222], acc233 // copy acc to vreg[206]
v_accvgpr_read_b32 v[vgprValuC+223], acc249 // copy acc to vreg[207]
v_accvgpr_read_b32 v[vgprValuC+224], acc138 // copy acc to vreg[208]
v_accvgpr_read_b32 v[vgprValuC+225], acc154 // copy acc to vreg[209]
v_accvgpr_read_b32 v[vgprValuC+226], acc170 // copy acc to vreg[210]
v_accvgpr_read_b32 v[vgprValuC+227], acc186 // copy acc to vreg[211]
v_accvgpr_read_b32 v[vgprValuC+228], acc202 // copy acc to vreg[212]
v_accvgpr_read_b32 v[vgprValuC+229], acc218 // copy acc to vreg[213]
v_accvgpr_read_b32 v[vgprValuC+230], acc234 // copy acc to vreg[214]
v_accvgpr_read_b32 v[vgprValuC+231], acc250 // copy acc to vreg[215]
v_accvgpr_read_b32 v[vgprValuC+232], acc139 // copy acc to vreg[216]
v_accvgpr_read_b32 v[vgprValuC+233], acc155 // copy acc to vreg[217]
v_accvgpr_read_b32 v[vgprValuC+234], acc171 // copy acc to vreg[218]
v_accvgpr_read_b32 v[vgprValuC+235], acc187 // copy acc to vreg[219]
v_accvgpr_read_b32 v[vgprValuC+236], acc203 // copy acc to vreg[220]
v_accvgpr_read_b32 v[vgprValuC+237], acc219 // copy acc to vreg[221]
v_accvgpr_read_b32 v[vgprValuC+238], acc235 // copy acc to vreg[222]
v_accvgpr_read_b32 v[vgprValuC+239], acc251 // copy acc to vreg[223]
v_accvgpr_read_b32 v[vgprValuC+240], acc140 // copy acc to vreg[224]
v_accvgpr_read_b32 v[vgprValuC+241], acc156 // copy acc to vreg[225]
v_accvgpr_read_b32 v[vgprValuC+242], acc172 // copy acc to vreg[226]
v_accvgpr_read_b32 v[vgprValuC+243], acc188 // copy acc to vreg[227]
v_accvgpr_read_b32 v[vgprValuC+244], acc204 // copy acc to vreg[228]
v_accvgpr_read_b32 v[vgprValuC+245], acc220 // copy acc to vreg[229]
v_accvgpr_read_b32 v[vgprValuC+246], acc236 // copy acc to vreg[230]
v_accvgpr_read_b32 v[vgprValuC+247], acc252 // copy acc to vreg[231]
v_accvgpr_read_b32 v[vgprValuC+248], acc141 // copy acc to vreg[232]
v_accvgpr_read_b32 v[vgprValuC+249], acc157 // copy acc to vreg[233]
v_accvgpr_read_b32 v[vgprValuC+250], acc173 // copy acc to vreg[234]
v_accvgpr_read_b32 v[vgprValuC+251], acc189 // copy acc to vreg[235]
v_accvgpr_read_b32 v[vgprValuC+252], acc205 // copy acc to vreg[236]
v_accvgpr_read_b32 v[vgprValuC+253], acc221 // copy acc to vreg[237]
v_accvgpr_read_b32 v[vgprValuC+254], acc237 // copy acc to vreg[238]
v_accvgpr_read_b32 v[vgprValuC+255], acc253 // copy acc to vreg[239]
s_nop 1                                            // 2 wait states required before reading vgpr

/* apply mask, calc new C and issue writes */
v_mov_b32 v10, 0x207                               // flag for Nan and +/- inf
v_mov_b32 v8, 0x47600000                           // save 57344.0f as max for clipping
v_mov_b32 v9, 0xC7600000                           // save -57344`.0f as min for clipping
v_cmp_class_f32 s[34:35], v[vgprValuC+13], v10     // check NaN and +/-INF
v_med3_f32 v6, v[vgprValuC+13], v8, v9             // Clipping f32 value if exceeds the limit
v_cndmask_b32 v6, v6, v[vgprValuC+13], s[34:35]    // 
v_cvt_pk_bf8_f32  v13, v6, v6                      // convert f32 accumulated values to fp8
buffer_store_byte v13, v11, s[sgprSrdD:sgprSrdD+3], 0, offen, offset:0,  sc0 sc1 // store D
v_cmp_class_f32 s[34:35], v[vgprValuC+14], v10     // check NaN and +/-INF
v_med3_f32 v6, v[vgprValuC+14], v8, v9             // Clipping f32 value if exceeds the limit
v_cndmask_b32 v6, v6, v[vgprValuC+14], s[34:35]    // 
v_cvt_pk_bf8_f32  v14, v6, v6                      // convert f32 accumulated values to fp8
buffer_store_byte v14, v11, s[sgprSrdD:sgprSrdD+3], 0, offen, offset:32,  sc0 sc1 // store D
	;; [unrolled: 5-line block ×8, first 2 shown]
v_cmp_class_f32 s[34:35], v[vgprValuC+21], v10     // check NaN and +/-INF
v_med3_f32 v6, v[vgprValuC+21], v8, v9             // Clipping f32 value if exceeds the limit
v_cndmask_b32 v6, v6, v[vgprValuC+21], s[34:35]    // 
v_cvt_pk_bf8_f32  v21, v6, v6                      // convert f32 accumulated values to fp8
s_lshl_b32  s34, s[sgprStrideD1J], 0               // incToNextRow: Scale by BPE
s_add_u32  s[sgprSrdD+0], s[sgprSrdD+0], s34       // incToNextRow: gra SRD += inc(lower)
s_addc_u32  s[sgprSrdD+1], s[sgprSrdD+1], 0        // incToNextRow: gra SRD += inc(upper)
buffer_store_byte v21, v11, s[sgprSrdD:sgprSrdD+3], 0, offen, offset:0,  sc0 sc1 // store D
v_cmp_class_f32 s[34:35], v[vgprValuC+22], v10     // check NaN and +/-INF
v_med3_f32 v6, v[vgprValuC+22], v8, v9             // Clipping f32 value if exceeds the limit
v_cndmask_b32 v6, v6, v[vgprValuC+22], s[34:35]    // 
v_cvt_pk_bf8_f32  v22, v6, v6                      // convert f32 accumulated values to fp8
buffer_store_byte v22, v11, s[sgprSrdD:sgprSrdD+3], 0, offen, offset:32,  sc0 sc1 // store D
v_cmp_class_f32 s[34:35], v[vgprValuC+23], v10     // check NaN and +/-INF
v_med3_f32 v6, v[vgprValuC+23], v8, v9             // Clipping f32 value if exceeds the limit
v_cndmask_b32 v6, v6, v[vgprValuC+23], s[34:35]    // 
v_cvt_pk_bf8_f32  v23, v6, v6                      // convert f32 accumulated values to fp8
buffer_store_byte v23, v11, s[sgprSrdD:sgprSrdD+3], 0, offen, offset:64,  sc0 sc1 // store D
v_cmp_class_f32 s[34:35], v[vgprValuC+24], v10     // check NaN and +/-INF
v_med3_f32 v6, v[vgprValuC+24], v8, v9             // Clipping f32 value if exceeds the limit
v_cndmask_b32 v6, v6, v[vgprValuC+24], s[34:35]    // 
v_cvt_pk_bf8_f32  v24, v6, v6                      // convert f32 accumulated values to fp8
buffer_store_byte v24, v11, s[sgprSrdD:sgprSrdD+3], 0, offen, offset:96,  sc0 sc1 // store D
v_cmp_class_f32 s[34:35], v[vgprValuC+25], v10     // check NaN and +/-INF
v_med3_f32 v6, v[vgprValuC+25], v8, v9             // Clipping f32 value if exceeds the limit
v_cndmask_b32 v6, v6, v[vgprValuC+25], s[34:35]    // 
v_cvt_pk_bf8_f32  v25, v6, v6                      // convert f32 accumulated values to fp8
buffer_store_byte v25, v11, s[sgprSrdD:sgprSrdD+3], 0, offen, offset:128,  sc0 sc1 // store D
v_cmp_class_f32 s[34:35], v[vgprValuC+26], v10     // check NaN and +/-INF
v_med3_f32 v6, v[vgprValuC+26], v8, v9             // Clipping f32 value if exceeds the limit
v_cndmask_b32 v6, v6, v[vgprValuC+26], s[34:35]    // 
v_cvt_pk_bf8_f32  v26, v6, v6                      // convert f32 accumulated values to fp8
buffer_store_byte v26, v11, s[sgprSrdD:sgprSrdD+3], 0, offen, offset:160,  sc0 sc1 // store D
v_cmp_class_f32 s[34:35], v[vgprValuC+27], v10     // check NaN and +/-INF
v_med3_f32 v6, v[vgprValuC+27], v8, v9             // Clipping f32 value if exceeds the limit
v_cndmask_b32 v6, v6, v[vgprValuC+27], s[34:35]    // 
v_cvt_pk_bf8_f32  v27, v6, v6                      // convert f32 accumulated values to fp8
buffer_store_byte v27, v11, s[sgprSrdD:sgprSrdD+3], 0, offen, offset:192,  sc0 sc1 // store D
v_cmp_class_f32 s[34:35], v[vgprValuC+28], v10     // check NaN and +/-INF
v_med3_f32 v6, v[vgprValuC+28], v8, v9             // Clipping f32 value if exceeds the limit
v_cndmask_b32 v6, v6, v[vgprValuC+28], s[34:35]    // 
v_cvt_pk_bf8_f32  v28, v6, v6                      // convert f32 accumulated values to fp8
buffer_store_byte v28, v11, s[sgprSrdD:sgprSrdD+3], 0, offen, offset:224,  sc0 sc1 // store D
v_cmp_class_f32 s[34:35], v[vgprValuC+29], v10     // check NaN and +/-INF
v_med3_f32 v6, v[vgprValuC+29], v8, v9             // Clipping f32 value if exceeds the limit
v_cndmask_b32 v6, v6, v[vgprValuC+29], s[34:35]    // 
v_cvt_pk_bf8_f32  v29, v6, v6                      // convert f32 accumulated values to fp8
s_lshl_b32  s34, s[sgprStrideD1J], 0               // incToNextRow: Scale by BPE
s_add_u32  s[sgprSrdD+0], s[sgprSrdD+0], s34       // incToNextRow: gra SRD += inc(lower)
s_addc_u32  s[sgprSrdD+1], s[sgprSrdD+1], 0        // incToNextRow: gra SRD += inc(upper)
buffer_store_byte v29, v11, s[sgprSrdD:sgprSrdD+3], 0, offen, offset:0,  sc0 sc1 // store D
v_cmp_class_f32 s[34:35], v[vgprValuC+30], v10     // check NaN and +/-INF
v_med3_f32 v6, v[vgprValuC+30], v8, v9             // Clipping f32 value if exceeds the limit
v_cndmask_b32 v6, v6, v[vgprValuC+30], s[34:35]    // 
v_cvt_pk_bf8_f32  v30, v6, v6                      // convert f32 accumulated values to fp8
buffer_store_byte v30, v11, s[sgprSrdD:sgprSrdD+3], 0, offen, offset:32,  sc0 sc1 // store D
v_cmp_class_f32 s[34:35], v[vgprValuC+31], v10     // check NaN and +/-INF
v_med3_f32 v6, v[vgprValuC+31], v8, v9             // Clipping f32 value if exceeds the limit
v_cndmask_b32 v6, v6, v[vgprValuC+31], s[34:35]    // 
v_cvt_pk_bf8_f32  v31, v6, v6                      // convert f32 accumulated values to fp8
buffer_store_byte v31, v11, s[sgprSrdD:sgprSrdD+3], 0, offen, offset:64,  sc0 sc1 // store D
v_cmp_class_f32 s[34:35], v[vgprValuC+32], v10     // check NaN and +/-INF
v_med3_f32 v6, v[vgprValuC+32], v8, v9             // Clipping f32 value if exceeds the limit
v_cndmask_b32 v6, v6, v[vgprValuC+32], s[34:35]    // 
v_cvt_pk_bf8_f32  v32, v6, v6                      // convert f32 accumulated values to fp8
buffer_store_byte v32, v11, s[sgprSrdD:sgprSrdD+3], 0, offen, offset:96,  sc0 sc1 // store D
v_cmp_class_f32 s[34:35], v[vgprValuC+33], v10     // check NaN and +/-INF
v_med3_f32 v6, v[vgprValuC+33], v8, v9             // Clipping f32 value if exceeds the limit
v_cndmask_b32 v6, v6, v[vgprValuC+33], s[34:35]    // 
v_cvt_pk_bf8_f32  v33, v6, v6                      // convert f32 accumulated values to fp8
buffer_store_byte v33, v11, s[sgprSrdD:sgprSrdD+3], 0, offen, offset:128,  sc0 sc1 // store D
v_cmp_class_f32 s[34:35], v[vgprValuC+34], v10     // check NaN and +/-INF
v_med3_f32 v6, v[vgprValuC+34], v8, v9             // Clipping f32 value if exceeds the limit
v_cndmask_b32 v6, v6, v[vgprValuC+34], s[34:35]    // 
v_cvt_pk_bf8_f32  v34, v6, v6                      // convert f32 accumulated values to fp8
buffer_store_byte v34, v11, s[sgprSrdD:sgprSrdD+3], 0, offen, offset:160,  sc0 sc1 // store D
v_cmp_class_f32 s[34:35], v[vgprValuC+35], v10     // check NaN and +/-INF
v_med3_f32 v6, v[vgprValuC+35], v8, v9             // Clipping f32 value if exceeds the limit
v_cndmask_b32 v6, v6, v[vgprValuC+35], s[34:35]    // 
v_cvt_pk_bf8_f32  v35, v6, v6                      // convert f32 accumulated values to fp8
buffer_store_byte v35, v11, s[sgprSrdD:sgprSrdD+3], 0, offen, offset:192,  sc0 sc1 // store D
v_cmp_class_f32 s[34:35], v[vgprValuC+36], v10     // check NaN and +/-INF
v_med3_f32 v6, v[vgprValuC+36], v8, v9             // Clipping f32 value if exceeds the limit
v_cndmask_b32 v6, v6, v[vgprValuC+36], s[34:35]    // 
v_cvt_pk_bf8_f32  v36, v6, v6                      // convert f32 accumulated values to fp8
buffer_store_byte v36, v11, s[sgprSrdD:sgprSrdD+3], 0, offen, offset:224,  sc0 sc1 // store D
	;; [unrolled: 43-line block ×3, first 2 shown]
v_cmp_class_f32 s[34:35], v[vgprValuC+45], v10     // check NaN and +/-INF
v_med3_f32 v6, v[vgprValuC+45], v8, v9             // Clipping f32 value if exceeds the limit
v_cndmask_b32 v6, v6, v[vgprValuC+45], s[34:35]    // 
v_cvt_pk_bf8_f32  v45, v6, v6                      // convert f32 accumulated values to fp8
s_mul_i32 s34, s[sgprStrideD1J], 5                 // scale StrideD *= numRows(5) * bpe
s_add_u32  s[sgprSrdD+0], s[sgprSrdD+0], s34       // incToNextRow: gra SRD += inc(lower)
s_addc_u32  s[sgprSrdD+1], s[sgprSrdD+1], 0        // incToNextRow: gra SRD += inc(upper)
buffer_store_byte v45, v11, s[sgprSrdD:sgprSrdD+3], 0, offen, offset:0,  sc0 sc1 // store D
v_cmp_class_f32 s[34:35], v[vgprValuC+46], v10     // check NaN and +/-INF
v_med3_f32 v6, v[vgprValuC+46], v8, v9             // Clipping f32 value if exceeds the limit
v_cndmask_b32 v6, v6, v[vgprValuC+46], s[34:35]    // 
v_cvt_pk_bf8_f32  v46, v6, v6                      // convert f32 accumulated values to fp8
buffer_store_byte v46, v11, s[sgprSrdD:sgprSrdD+3], 0, offen, offset:32,  sc0 sc1 // store D
v_cmp_class_f32 s[34:35], v[vgprValuC+47], v10     // check NaN and +/-INF
v_med3_f32 v6, v[vgprValuC+47], v8, v9             // Clipping f32 value if exceeds the limit
v_cndmask_b32 v6, v6, v[vgprValuC+47], s[34:35]    // 
v_cvt_pk_bf8_f32  v47, v6, v6                      // convert f32 accumulated values to fp8
buffer_store_byte v47, v11, s[sgprSrdD:sgprSrdD+3], 0, offen, offset:64,  sc0 sc1 // store D
v_cmp_class_f32 s[34:35], v[vgprValuC+48], v10     // check NaN and +/-INF
v_med3_f32 v6, v[vgprValuC+48], v8, v9             // Clipping f32 value if exceeds the limit
v_cndmask_b32 v6, v6, v[vgprValuC+48], s[34:35]    // 
v_cvt_pk_bf8_f32  v48, v6, v6                      // convert f32 accumulated values to fp8
buffer_store_byte v48, v11, s[sgprSrdD:sgprSrdD+3], 0, offen, offset:96,  sc0 sc1 // store D
v_cmp_class_f32 s[34:35], v[vgprValuC+49], v10     // check NaN and +/-INF
v_med3_f32 v6, v[vgprValuC+49], v8, v9             // Clipping f32 value if exceeds the limit
v_cndmask_b32 v6, v6, v[vgprValuC+49], s[34:35]    // 
v_cvt_pk_bf8_f32  v49, v6, v6                      // convert f32 accumulated values to fp8
buffer_store_byte v49, v11, s[sgprSrdD:sgprSrdD+3], 0, offen, offset:128,  sc0 sc1 // store D
v_cmp_class_f32 s[34:35], v[vgprValuC+50], v10     // check NaN and +/-INF
v_med3_f32 v6, v[vgprValuC+50], v8, v9             // Clipping f32 value if exceeds the limit
v_cndmask_b32 v6, v6, v[vgprValuC+50], s[34:35]    // 
v_cvt_pk_bf8_f32  v50, v6, v6                      // convert f32 accumulated values to fp8
buffer_store_byte v50, v11, s[sgprSrdD:sgprSrdD+3], 0, offen, offset:160,  sc0 sc1 // store D
v_cmp_class_f32 s[34:35], v[vgprValuC+51], v10     // check NaN and +/-INF
v_med3_f32 v6, v[vgprValuC+51], v8, v9             // Clipping f32 value if exceeds the limit
v_cndmask_b32 v6, v6, v[vgprValuC+51], s[34:35]    // 
v_cvt_pk_bf8_f32  v51, v6, v6                      // convert f32 accumulated values to fp8
buffer_store_byte v51, v11, s[sgprSrdD:sgprSrdD+3], 0, offen, offset:192,  sc0 sc1 // store D
v_cmp_class_f32 s[34:35], v[vgprValuC+52], v10     // check NaN and +/-INF
v_med3_f32 v6, v[vgprValuC+52], v8, v9             // Clipping f32 value if exceeds the limit
v_cndmask_b32 v6, v6, v[vgprValuC+52], s[34:35]    // 
v_cvt_pk_bf8_f32  v52, v6, v6                      // convert f32 accumulated values to fp8
buffer_store_byte v52, v11, s[sgprSrdD:sgprSrdD+3], 0, offen, offset:224,  sc0 sc1 // store D
v_cmp_class_f32 s[34:35], v[vgprValuC+53], v10     // check NaN and +/-INF
v_med3_f32 v6, v[vgprValuC+53], v8, v9             // Clipping f32 value if exceeds the limit
v_cndmask_b32 v6, v6, v[vgprValuC+53], s[34:35]    // 
v_cvt_pk_bf8_f32  v53, v6, v6                      // convert f32 accumulated values to fp8
s_lshl_b32  s34, s[sgprStrideD1J], 0               // incToNextRow: Scale by BPE
s_add_u32  s[sgprSrdD+0], s[sgprSrdD+0], s34       // incToNextRow: gra SRD += inc(lower)
s_addc_u32  s[sgprSrdD+1], s[sgprSrdD+1], 0        // incToNextRow: gra SRD += inc(upper)
buffer_store_byte v53, v11, s[sgprSrdD:sgprSrdD+3], 0, offen, offset:0,  sc0 sc1 // store D
v_cmp_class_f32 s[34:35], v[vgprValuC+54], v10     // check NaN and +/-INF
v_med3_f32 v6, v[vgprValuC+54], v8, v9             // Clipping f32 value if exceeds the limit
v_cndmask_b32 v6, v6, v[vgprValuC+54], s[34:35]    // 
v_cvt_pk_bf8_f32  v54, v6, v6                      // convert f32 accumulated values to fp8
buffer_store_byte v54, v11, s[sgprSrdD:sgprSrdD+3], 0, offen, offset:32,  sc0 sc1 // store D
v_cmp_class_f32 s[34:35], v[vgprValuC+55], v10     // check NaN and +/-INF
v_med3_f32 v6, v[vgprValuC+55], v8, v9             // Clipping f32 value if exceeds the limit
v_cndmask_b32 v6, v6, v[vgprValuC+55], s[34:35]    // 
v_cvt_pk_bf8_f32  v55, v6, v6                      // convert f32 accumulated values to fp8
buffer_store_byte v55, v11, s[sgprSrdD:sgprSrdD+3], 0, offen, offset:64,  sc0 sc1 // store D
v_cmp_class_f32 s[34:35], v[vgprValuC+56], v10     // check NaN and +/-INF
v_med3_f32 v6, v[vgprValuC+56], v8, v9             // Clipping f32 value if exceeds the limit
v_cndmask_b32 v6, v6, v[vgprValuC+56], s[34:35]    // 
v_cvt_pk_bf8_f32  v56, v6, v6                      // convert f32 accumulated values to fp8
buffer_store_byte v56, v11, s[sgprSrdD:sgprSrdD+3], 0, offen, offset:96,  sc0 sc1 // store D
v_cmp_class_f32 s[34:35], v[vgprValuC+57], v10     // check NaN and +/-INF
v_med3_f32 v6, v[vgprValuC+57], v8, v9             // Clipping f32 value if exceeds the limit
v_cndmask_b32 v6, v6, v[vgprValuC+57], s[34:35]    // 
v_cvt_pk_bf8_f32  v57, v6, v6                      // convert f32 accumulated values to fp8
buffer_store_byte v57, v11, s[sgprSrdD:sgprSrdD+3], 0, offen, offset:128,  sc0 sc1 // store D
v_cmp_class_f32 s[34:35], v[vgprValuC+58], v10     // check NaN and +/-INF
v_med3_f32 v6, v[vgprValuC+58], v8, v9             // Clipping f32 value if exceeds the limit
v_cndmask_b32 v6, v6, v[vgprValuC+58], s[34:35]    // 
v_cvt_pk_bf8_f32  v58, v6, v6                      // convert f32 accumulated values to fp8
buffer_store_byte v58, v11, s[sgprSrdD:sgprSrdD+3], 0, offen, offset:160,  sc0 sc1 // store D
v_cmp_class_f32 s[34:35], v[vgprValuC+59], v10     // check NaN and +/-INF
v_med3_f32 v6, v[vgprValuC+59], v8, v9             // Clipping f32 value if exceeds the limit
v_cndmask_b32 v6, v6, v[vgprValuC+59], s[34:35]    // 
v_cvt_pk_bf8_f32  v59, v6, v6                      // convert f32 accumulated values to fp8
buffer_store_byte v59, v11, s[sgprSrdD:sgprSrdD+3], 0, offen, offset:192,  sc0 sc1 // store D
v_cmp_class_f32 s[34:35], v[vgprValuC+60], v10     // check NaN and +/-INF
v_med3_f32 v6, v[vgprValuC+60], v8, v9             // Clipping f32 value if exceeds the limit
v_cndmask_b32 v6, v6, v[vgprValuC+60], s[34:35]    // 
v_cvt_pk_bf8_f32  v60, v6, v6                      // convert f32 accumulated values to fp8
buffer_store_byte v60, v11, s[sgprSrdD:sgprSrdD+3], 0, offen, offset:224,  sc0 sc1 // store D
v_cmp_class_f32 s[34:35], v[vgprValuC+61], v10     // check NaN and +/-INF
v_med3_f32 v6, v[vgprValuC+61], v8, v9             // Clipping f32 value if exceeds the limit
v_cndmask_b32 v6, v6, v[vgprValuC+61], s[34:35]    // 
v_cvt_pk_bf8_f32  v61, v6, v6                      // convert f32 accumulated values to fp8
s_lshl_b32  s34, s[sgprStrideD1J], 0               // incToNextRow: Scale by BPE
	;; [unrolled: 43-line block ×3, first 2 shown]
s_add_u32  s[sgprSrdD+0], s[sgprSrdD+0], s34       // incToNextRow: gra SRD += inc(lower)
s_addc_u32  s[sgprSrdD+1], s[sgprSrdD+1], 0        // incToNextRow: gra SRD += inc(upper)
buffer_store_byte v69, v11, s[sgprSrdD:sgprSrdD+3], 0, offen, offset:0,  sc0 sc1 // store D
v_cmp_class_f32 s[34:35], v[vgprValuC+70], v10     // check NaN and +/-INF
v_med3_f32 v6, v[vgprValuC+70], v8, v9             // Clipping f32 value if exceeds the limit
v_cndmask_b32 v6, v6, v[vgprValuC+70], s[34:35]    // 
v_cvt_pk_bf8_f32  v70, v6, v6                      // convert f32 accumulated values to fp8
buffer_store_byte v70, v11, s[sgprSrdD:sgprSrdD+3], 0, offen, offset:32,  sc0 sc1 // store D
v_cmp_class_f32 s[34:35], v[vgprValuC+71], v10     // check NaN and +/-INF
v_med3_f32 v6, v[vgprValuC+71], v8, v9             // Clipping f32 value if exceeds the limit
v_cndmask_b32 v6, v6, v[vgprValuC+71], s[34:35]    // 
v_cvt_pk_bf8_f32  v71, v6, v6                      // convert f32 accumulated values to fp8
	;; [unrolled: 5-line block ×8, first 2 shown]
s_mul_i32 s34, s[sgprStrideD1J], 5                 // scale StrideD *= numRows(5) * bpe
s_add_u32  s[sgprSrdD+0], s[sgprSrdD+0], s34       // incToNextRow: gra SRD += inc(lower)
s_addc_u32  s[sgprSrdD+1], s[sgprSrdD+1], 0        // incToNextRow: gra SRD += inc(upper)
buffer_store_byte v77, v11, s[sgprSrdD:sgprSrdD+3], 0, offen, offset:0,  sc0 sc1 // store D
v_cmp_class_f32 s[34:35], v[vgprValuC+78], v10     // check NaN and +/-INF
v_med3_f32 v6, v[vgprValuC+78], v8, v9             // Clipping f32 value if exceeds the limit
v_cndmask_b32 v6, v6, v[vgprValuC+78], s[34:35]    // 
v_cvt_pk_bf8_f32  v78, v6, v6                      // convert f32 accumulated values to fp8
buffer_store_byte v78, v11, s[sgprSrdD:sgprSrdD+3], 0, offen, offset:32,  sc0 sc1 // store D
v_cmp_class_f32 s[34:35], v[vgprValuC+79], v10     // check NaN and +/-INF
v_med3_f32 v6, v[vgprValuC+79], v8, v9             // Clipping f32 value if exceeds the limit
v_cndmask_b32 v6, v6, v[vgprValuC+79], s[34:35]    // 
v_cvt_pk_bf8_f32  v79, v6, v6                      // convert f32 accumulated values to fp8
	;; [unrolled: 5-line block ×8, first 2 shown]
s_lshl_b32  s34, s[sgprStrideD1J], 0               // incToNextRow: Scale by BPE
s_add_u32  s[sgprSrdD+0], s[sgprSrdD+0], s34       // incToNextRow: gra SRD += inc(lower)
s_addc_u32  s[sgprSrdD+1], s[sgprSrdD+1], 0        // incToNextRow: gra SRD += inc(upper)
buffer_store_byte v85, v11, s[sgprSrdD:sgprSrdD+3], 0, offen, offset:0,  sc0 sc1 // store D
v_cmp_class_f32 s[34:35], v[vgprValuC+86], v10     // check NaN and +/-INF
v_med3_f32 v6, v[vgprValuC+86], v8, v9             // Clipping f32 value if exceeds the limit
v_cndmask_b32 v6, v6, v[vgprValuC+86], s[34:35]    // 
v_cvt_pk_bf8_f32  v86, v6, v6                      // convert f32 accumulated values to fp8
buffer_store_byte v86, v11, s[sgprSrdD:sgprSrdD+3], 0, offen, offset:32,  sc0 sc1 // store D
v_cmp_class_f32 s[34:35], v[vgprValuC+87], v10     // check NaN and +/-INF
v_med3_f32 v6, v[vgprValuC+87], v8, v9             // Clipping f32 value if exceeds the limit
v_cndmask_b32 v6, v6, v[vgprValuC+87], s[34:35]    // 
v_cvt_pk_bf8_f32  v87, v6, v6                      // convert f32 accumulated values to fp8
	;; [unrolled: 5-line block ×8, first 2 shown]
s_lshl_b32  s34, s[sgprStrideD1J], 0               // incToNextRow: Scale by BPE
s_add_u32  s[sgprSrdD+0], s[sgprSrdD+0], s34       // incToNextRow: gra SRD += inc(lower)
s_addc_u32  s[sgprSrdD+1], s[sgprSrdD+1], 0        // incToNextRow: gra SRD += inc(upper)
buffer_store_byte v93, v11, s[sgprSrdD:sgprSrdD+3], 0, offen, offset:0,  sc0 sc1 // store D
v_cmp_class_f32 s[34:35], v[vgprValuC+94], v10     // check NaN and +/-INF
v_med3_f32 v6, v[vgprValuC+94], v8, v9             // Clipping f32 value if exceeds the limit
v_cndmask_b32 v6, v6, v[vgprValuC+94], s[34:35]    // 
v_cvt_pk_bf8_f32  v94, v6, v6                      // convert f32 accumulated values to fp8
buffer_store_byte v94, v11, s[sgprSrdD:sgprSrdD+3], 0, offen, offset:32,  sc0 sc1 // store D
v_cmp_class_f32 s[34:35], v[vgprValuC+95], v10     // check NaN and +/-INF
v_med3_f32 v6, v[vgprValuC+95], v8, v9             // Clipping f32 value if exceeds the limit
v_cndmask_b32 v6, v6, v[vgprValuC+95], s[34:35]    // 
v_cvt_pk_bf8_f32  v95, v6, v6                      // convert f32 accumulated values to fp8
	;; [unrolled: 5-line block ×6, first 2 shown]
buffer_store_byte v99, v11, s[sgprSrdD:sgprSrdD+3], 0, offen, offset:192,  sc0 sc1 // store D
v_cmp_class_f32 s[34:35], v[vgprValuC+100], v10    // check NaN and +/-INF
v_med3_f32 v6, v[vgprValuC+100], v8, v9            // Clipping f32 value if exceeds the limit
v_cndmask_b32 v6, v6, v[vgprValuC+100], s[34:35]   // 
v_cvt_pk_bf8_f32  v100, v6, v6                     // convert f32 accumulated values to fp8
buffer_store_byte v100, v11, s[sgprSrdD:sgprSrdD+3], 0, offen, offset:224,  sc0 sc1 // store D
v_cmp_class_f32 s[34:35], v[vgprValuC+101], v10    // check NaN and +/-INF
v_med3_f32 v6, v[vgprValuC+101], v8, v9            // Clipping f32 value if exceeds the limit
v_cndmask_b32 v6, v6, v[vgprValuC+101], s[34:35]   // 
v_cvt_pk_bf8_f32  v101, v6, v6                     // convert f32 accumulated values to fp8
s_lshl_b32  s34, s[sgprStrideD1J], 0               // incToNextRow: Scale by BPE
s_add_u32  s[sgprSrdD+0], s[sgprSrdD+0], s34       // incToNextRow: gra SRD += inc(lower)
s_addc_u32  s[sgprSrdD+1], s[sgprSrdD+1], 0        // incToNextRow: gra SRD += inc(upper)
buffer_store_byte v101, v11, s[sgprSrdD:sgprSrdD+3], 0, offen, offset:0,  sc0 sc1 // store D
v_cmp_class_f32 s[34:35], v[vgprValuC+102], v10    // check NaN and +/-INF
v_med3_f32 v6, v[vgprValuC+102], v8, v9            // Clipping f32 value if exceeds the limit
v_cndmask_b32 v6, v6, v[vgprValuC+102], s[34:35]   // 
v_cvt_pk_bf8_f32  v102, v6, v6                     // convert f32 accumulated values to fp8
buffer_store_byte v102, v11, s[sgprSrdD:sgprSrdD+3], 0, offen, offset:32,  sc0 sc1 // store D
v_cmp_class_f32 s[34:35], v[vgprValuC+103], v10    // check NaN and +/-INF
v_med3_f32 v6, v[vgprValuC+103], v8, v9            // Clipping f32 value if exceeds the limit
v_cndmask_b32 v6, v6, v[vgprValuC+103], s[34:35]   // 
v_cvt_pk_bf8_f32  v103, v6, v6                     // convert f32 accumulated values to fp8
	;; [unrolled: 5-line block ×8, first 2 shown]
s_mul_i32 s34, s[sgprStrideD1J], 5                 // scale StrideD *= numRows(5) * bpe
s_add_u32  s[sgprSrdD+0], s[sgprSrdD+0], s34       // incToNextRow: gra SRD += inc(lower)
s_addc_u32  s[sgprSrdD+1], s[sgprSrdD+1], 0        // incToNextRow: gra SRD += inc(upper)
buffer_store_byte v109, v11, s[sgprSrdD:sgprSrdD+3], 0, offen, offset:0,  sc0 sc1 // store D
v_cmp_class_f32 s[34:35], v[vgprValuC+110], v10    // check NaN and +/-INF
v_med3_f32 v6, v[vgprValuC+110], v8, v9            // Clipping f32 value if exceeds the limit
v_cndmask_b32 v6, v6, v[vgprValuC+110], s[34:35]   // 
v_cvt_pk_bf8_f32  v110, v6, v6                     // convert f32 accumulated values to fp8
buffer_store_byte v110, v11, s[sgprSrdD:sgprSrdD+3], 0, offen, offset:32,  sc0 sc1 // store D
v_cmp_class_f32 s[34:35], v[vgprValuC+111], v10    // check NaN and +/-INF
v_med3_f32 v6, v[vgprValuC+111], v8, v9            // Clipping f32 value if exceeds the limit
v_cndmask_b32 v6, v6, v[vgprValuC+111], s[34:35]   // 
v_cvt_pk_bf8_f32  v111, v6, v6                     // convert f32 accumulated values to fp8
buffer_store_byte v111, v11, s[sgprSrdD:sgprSrdD+3], 0, offen, offset:64,  sc0 sc1 // store D
v_cmp_class_f32 s[34:35], v[vgprValuC+112], v10    // check NaN and +/-INF
v_med3_f32 v6, v[vgprValuC+112], v8, v9            // Clipping f32 value if exceeds the limit
v_cndmask_b32 v6, v6, v[vgprValuC+112], s[34:35]   // 
v_cvt_pk_bf8_f32  v112, v6, v6                     // convert f32 accumulated values to fp8
buffer_store_byte v112, v11, s[sgprSrdD:sgprSrdD+3], 0, offen, offset:96,  sc0 sc1 // store D
v_cmp_class_f32 s[34:35], v[vgprValuC+113], v10    // check NaN and +/-INF
v_med3_f32 v6, v[vgprValuC+113], v8, v9            // Clipping f32 value if exceeds the limit
v_cndmask_b32 v6, v6, v[vgprValuC+113], s[34:35]   // 
v_cvt_pk_bf8_f32  v113, v6, v6                     // convert f32 accumulated values to fp8
buffer_store_byte v113, v11, s[sgprSrdD:sgprSrdD+3], 0, offen, offset:128,  sc0 sc1 // store D
v_cmp_class_f32 s[34:35], v[vgprValuC+114], v10    // check NaN and +/-INF
v_med3_f32 v6, v[vgprValuC+114], v8, v9            // Clipping f32 value if exceeds the limit
v_cndmask_b32 v6, v6, v[vgprValuC+114], s[34:35]   // 
v_cvt_pk_bf8_f32  v114, v6, v6                     // convert f32 accumulated values to fp8
buffer_store_byte v114, v11, s[sgprSrdD:sgprSrdD+3], 0, offen, offset:160,  sc0 sc1 // store D
v_cmp_class_f32 s[34:35], v[vgprValuC+115], v10    // check NaN and +/-INF
v_med3_f32 v6, v[vgprValuC+115], v8, v9            // Clipping f32 value if exceeds the limit
v_cndmask_b32 v6, v6, v[vgprValuC+115], s[34:35]   // 
v_cvt_pk_bf8_f32  v115, v6, v6                     // convert f32 accumulated values to fp8
buffer_store_byte v115, v11, s[sgprSrdD:sgprSrdD+3], 0, offen, offset:192,  sc0 sc1 // store D
v_cmp_class_f32 s[34:35], v[vgprValuC+119], v10    // check NaN and +/-INF
v_med3_f32 v6, v[vgprValuC+119], v8, v9            // Clipping f32 value if exceeds the limit
v_cndmask_b32 v6, v6, v[vgprValuC+119], s[34:35]   // 
v_cvt_pk_bf8_f32  v119, v6, v6                     // convert f32 accumulated values to fp8
buffer_store_byte v119, v11, s[sgprSrdD:sgprSrdD+3], 0, offen, offset:224,  sc0 sc1 // store D
v_cmp_class_f32 s[34:35], v[vgprValuC+120], v10    // check NaN and +/-INF
v_med3_f32 v6, v[vgprValuC+120], v8, v9            // Clipping f32 value if exceeds the limit
v_cndmask_b32 v6, v6, v[vgprValuC+120], s[34:35]   // 
v_cvt_pk_bf8_f32  v120, v6, v6                     // convert f32 accumulated values to fp8
s_lshl_b32  s34, s[sgprStrideD1J], 0               // incToNextRow: Scale by BPE
s_add_u32  s[sgprSrdD+0], s[sgprSrdD+0], s34       // incToNextRow: gra SRD += inc(lower)
s_addc_u32  s[sgprSrdD+1], s[sgprSrdD+1], 0        // incToNextRow: gra SRD += inc(upper)
buffer_store_byte v120, v11, s[sgprSrdD:sgprSrdD+3], 0, offen, offset:0,  sc0 sc1 // store D
v_cmp_class_f32 s[34:35], v[vgprValuC+121], v10    // check NaN and +/-INF
v_med3_f32 v6, v[vgprValuC+121], v8, v9            // Clipping f32 value if exceeds the limit
v_cndmask_b32 v6, v6, v[vgprValuC+121], s[34:35]   // 
v_cvt_pk_bf8_f32  v121, v6, v6                     // convert f32 accumulated values to fp8
buffer_store_byte v121, v11, s[sgprSrdD:sgprSrdD+3], 0, offen, offset:32,  sc0 sc1 // store D
v_cmp_class_f32 s[34:35], v[vgprValuC+122], v10    // check NaN and +/-INF
v_med3_f32 v6, v[vgprValuC+122], v8, v9            // Clipping f32 value if exceeds the limit
v_cndmask_b32 v6, v6, v[vgprValuC+122], s[34:35]   // 
v_cvt_pk_bf8_f32  v122, v6, v6                     // convert f32 accumulated values to fp8
buffer_store_byte v122, v11, s[sgprSrdD:sgprSrdD+3], 0, offen, offset:64,  sc0 sc1 // store D
v_cmp_class_f32 s[34:35], v[vgprValuC+123], v10    // check NaN and +/-INF
v_med3_f32 v6, v[vgprValuC+123], v8, v9            // Clipping f32 value if exceeds the limit
v_cndmask_b32 v6, v6, v[vgprValuC+123], s[34:35]   // 
v_cvt_pk_bf8_f32  v123, v6, v6                     // convert f32 accumulated values to fp8
buffer_store_byte v123, v11, s[sgprSrdD:sgprSrdD+3], 0, offen, offset:96,  sc0 sc1 // store D
v_cmp_class_f32 s[34:35], v[vgprValuC+124], v10    // check NaN and +/-INF
v_med3_f32 v6, v[vgprValuC+124], v8, v9            // Clipping f32 value if exceeds the limit
v_cndmask_b32 v6, v6, v[vgprValuC+124], s[34:35]   // 
v_cvt_pk_bf8_f32  v124, v6, v6                     // convert f32 accumulated values to fp8
buffer_store_byte v124, v11, s[sgprSrdD:sgprSrdD+3], 0, offen, offset:128,  sc0 sc1 // store D
v_cmp_class_f32 s[34:35], v[vgprValuC+125], v10    // check NaN and +/-INF
v_med3_f32 v6, v[vgprValuC+125], v8, v9            // Clipping f32 value if exceeds the limit
v_cndmask_b32 v6, v6, v[vgprValuC+125], s[34:35]   // 
v_cvt_pk_bf8_f32  v125, v6, v6                     // convert f32 accumulated values to fp8
buffer_store_byte v125, v11, s[sgprSrdD:sgprSrdD+3], 0, offen, offset:160,  sc0 sc1 // store D
v_cmp_class_f32 s[34:35], v[vgprValuC+126], v10    // check NaN and +/-INF
v_med3_f32 v6, v[vgprValuC+126], v8, v9            // Clipping f32 value if exceeds the limit
v_cndmask_b32 v6, v6, v[vgprValuC+126], s[34:35]   // 
v_cvt_pk_bf8_f32  v126, v6, v6                     // convert f32 accumulated values to fp8
buffer_store_byte v126, v11, s[sgprSrdD:sgprSrdD+3], 0, offen, offset:192,  sc0 sc1 // store D
v_cmp_class_f32 s[34:35], v[vgprValuC+127], v10    // check NaN and +/-INF
v_med3_f32 v6, v[vgprValuC+127], v8, v9            // Clipping f32 value if exceeds the limit
v_cndmask_b32 v6, v6, v[vgprValuC+127], s[34:35]   // 
v_cvt_pk_bf8_f32  v127, v6, v6                     // convert f32 accumulated values to fp8
buffer_store_byte v127, v11, s[sgprSrdD:sgprSrdD+3], 0, offen, offset:224,  sc0 sc1 // store D
v_cmp_class_f32 s[34:35], v[vgprValuC+128], v10    // check NaN and +/-INF
v_med3_f32 v6, v[vgprValuC+128], v8, v9            // Clipping f32 value if exceeds the limit
v_cndmask_b32 v6, v6, v[vgprValuC+128], s[34:35]   // 
v_cvt_pk_bf8_f32  v128, v6, v6                     // convert f32 accumulated values to fp8
s_lshl_b32  s34, s[sgprStrideD1J], 0               // incToNextRow: Scale by BPE
	;; [unrolled: 43-line block ×3, first 2 shown]
s_add_u32  s[sgprSrdD+0], s[sgprSrdD+0], s34       // incToNextRow: gra SRD += inc(lower)
s_addc_u32  s[sgprSrdD+1], s[sgprSrdD+1], 0        // incToNextRow: gra SRD += inc(upper)
buffer_store_byte v136, v11, s[sgprSrdD:sgprSrdD+3], 0, offen, offset:0,  sc0 sc1 // store D
v_cmp_class_f32 s[34:35], v[vgprValuC+137], v10    // check NaN and +/-INF
v_med3_f32 v6, v[vgprValuC+137], v8, v9            // Clipping f32 value if exceeds the limit
v_cndmask_b32 v6, v6, v[vgprValuC+137], s[34:35]   // 
v_cvt_pk_bf8_f32  v137, v6, v6                     // convert f32 accumulated values to fp8
buffer_store_byte v137, v11, s[sgprSrdD:sgprSrdD+3], 0, offen, offset:32,  sc0 sc1 // store D
v_cmp_class_f32 s[34:35], v[vgprValuC+138], v10    // check NaN and +/-INF
v_med3_f32 v6, v[vgprValuC+138], v8, v9            // Clipping f32 value if exceeds the limit
v_cndmask_b32 v6, v6, v[vgprValuC+138], s[34:35]   // 
v_cvt_pk_bf8_f32  v138, v6, v6                     // convert f32 accumulated values to fp8
	;; [unrolled: 5-line block ×8, first 2 shown]
s_mul_i32 s34, s[sgprStrideD1J], 101               // scale StrideD *= numRows(101) * bpe
s_add_u32  s[sgprSrdD+0], s[sgprSrdD+0], s34       // incToNextRow: gra SRD += inc(lower)
s_addc_u32  s[sgprSrdD+1], s[sgprSrdD+1], 0        // incToNextRow: gra SRD += inc(upper)
buffer_store_byte v144, v11, s[sgprSrdD:sgprSrdD+3], 0, offen, offset:0,  sc0 sc1 // store D
v_cmp_class_f32 s[34:35], v[vgprValuC+145], v10    // check NaN and +/-INF
v_med3_f32 v6, v[vgprValuC+145], v8, v9            // Clipping f32 value if exceeds the limit
v_cndmask_b32 v6, v6, v[vgprValuC+145], s[34:35]   // 
v_cvt_pk_bf8_f32  v145, v6, v6                     // convert f32 accumulated values to fp8
buffer_store_byte v145, v11, s[sgprSrdD:sgprSrdD+3], 0, offen, offset:32,  sc0 sc1 // store D
v_cmp_class_f32 s[34:35], v[vgprValuC+146], v10    // check NaN and +/-INF
v_med3_f32 v6, v[vgprValuC+146], v8, v9            // Clipping f32 value if exceeds the limit
v_cndmask_b32 v6, v6, v[vgprValuC+146], s[34:35]   // 
v_cvt_pk_bf8_f32  v146, v6, v6                     // convert f32 accumulated values to fp8
buffer_store_byte v146, v11, s[sgprSrdD:sgprSrdD+3], 0, offen, offset:64,  sc0 sc1 // store D
v_cmp_class_f32 s[34:35], v[vgprValuC+147], v10    // check NaN and +/-INF
v_med3_f32 v6, v[vgprValuC+147], v8, v9            // Clipping f32 value if exceeds the limit
v_cndmask_b32 v6, v6, v[vgprValuC+147], s[34:35]   // 
v_cvt_pk_bf8_f32  v147, v6, v6                     // convert f32 accumulated values to fp8
buffer_store_byte v147, v11, s[sgprSrdD:sgprSrdD+3], 0, offen, offset:96,  sc0 sc1 // store D
v_cmp_class_f32 s[34:35], v[vgprValuC+148], v10    // check NaN and +/-INF
v_med3_f32 v6, v[vgprValuC+148], v8, v9            // Clipping f32 value if exceeds the limit
v_cndmask_b32 v6, v6, v[vgprValuC+148], s[34:35]   // 
v_cvt_pk_bf8_f32  v148, v6, v6                     // convert f32 accumulated values to fp8
buffer_store_byte v148, v11, s[sgprSrdD:sgprSrdD+3], 0, offen, offset:128,  sc0 sc1 // store D
v_cmp_class_f32 s[34:35], v[vgprValuC+149], v10    // check NaN and +/-INF
v_med3_f32 v6, v[vgprValuC+149], v8, v9            // Clipping f32 value if exceeds the limit
v_cndmask_b32 v6, v6, v[vgprValuC+149], s[34:35]   // 
v_cvt_pk_bf8_f32  v149, v6, v6                     // convert f32 accumulated values to fp8
buffer_store_byte v149, v11, s[sgprSrdD:sgprSrdD+3], 0, offen, offset:160,  sc0 sc1 // store D
v_cmp_class_f32 s[34:35], v[vgprValuC+150], v10    // check NaN and +/-INF
v_med3_f32 v6, v[vgprValuC+150], v8, v9            // Clipping f32 value if exceeds the limit
v_cndmask_b32 v6, v6, v[vgprValuC+150], s[34:35]   // 
v_cvt_pk_bf8_f32  v150, v6, v6                     // convert f32 accumulated values to fp8
buffer_store_byte v150, v11, s[sgprSrdD:sgprSrdD+3], 0, offen, offset:192,  sc0 sc1 // store D
v_cmp_class_f32 s[34:35], v[vgprValuC+151], v10    // check NaN and +/-INF
v_med3_f32 v6, v[vgprValuC+151], v8, v9            // Clipping f32 value if exceeds the limit
v_cndmask_b32 v6, v6, v[vgprValuC+151], s[34:35]   // 
v_cvt_pk_bf8_f32  v151, v6, v6                     // convert f32 accumulated values to fp8
buffer_store_byte v151, v11, s[sgprSrdD:sgprSrdD+3], 0, offen, offset:224,  sc0 sc1 // store D
v_cmp_class_f32 s[34:35], v[vgprValuC+152], v10    // check NaN and +/-INF
v_med3_f32 v6, v[vgprValuC+152], v8, v9            // Clipping f32 value if exceeds the limit
v_cndmask_b32 v6, v6, v[vgprValuC+152], s[34:35]   // 
v_cvt_pk_bf8_f32  v152, v6, v6                     // convert f32 accumulated values to fp8
s_lshl_b32  s34, s[sgprStrideD1J], 0               // incToNextRow: Scale by BPE
s_add_u32  s[sgprSrdD+0], s[sgprSrdD+0], s34       // incToNextRow: gra SRD += inc(lower)
s_addc_u32  s[sgprSrdD+1], s[sgprSrdD+1], 0        // incToNextRow: gra SRD += inc(upper)
buffer_store_byte v152, v11, s[sgprSrdD:sgprSrdD+3], 0, offen, offset:0,  sc0 sc1 // store D
v_cmp_class_f32 s[34:35], v[vgprValuC+153], v10    // check NaN and +/-INF
v_med3_f32 v6, v[vgprValuC+153], v8, v9            // Clipping f32 value if exceeds the limit
v_cndmask_b32 v6, v6, v[vgprValuC+153], s[34:35]   // 
v_cvt_pk_bf8_f32  v153, v6, v6                     // convert f32 accumulated values to fp8
buffer_store_byte v153, v11, s[sgprSrdD:sgprSrdD+3], 0, offen, offset:32,  sc0 sc1 // store D
v_cmp_class_f32 s[34:35], v[vgprValuC+154], v10    // check NaN and +/-INF
v_med3_f32 v6, v[vgprValuC+154], v8, v9            // Clipping f32 value if exceeds the limit
v_cndmask_b32 v6, v6, v[vgprValuC+154], s[34:35]   // 
v_cvt_pk_bf8_f32  v154, v6, v6                     // convert f32 accumulated values to fp8
buffer_store_byte v154, v11, s[sgprSrdD:sgprSrdD+3], 0, offen, offset:64,  sc0 sc1 // store D
v_cmp_class_f32 s[34:35], v[vgprValuC+155], v10    // check NaN and +/-INF
v_med3_f32 v6, v[vgprValuC+155], v8, v9            // Clipping f32 value if exceeds the limit
v_cndmask_b32 v6, v6, v[vgprValuC+155], s[34:35]   // 
v_cvt_pk_bf8_f32  v155, v6, v6                     // convert f32 accumulated values to fp8
buffer_store_byte v155, v11, s[sgprSrdD:sgprSrdD+3], 0, offen, offset:96,  sc0 sc1 // store D
v_cmp_class_f32 s[34:35], v[vgprValuC+156], v10    // check NaN and +/-INF
v_med3_f32 v6, v[vgprValuC+156], v8, v9            // Clipping f32 value if exceeds the limit
v_cndmask_b32 v6, v6, v[vgprValuC+156], s[34:35]   // 
v_cvt_pk_bf8_f32  v156, v6, v6                     // convert f32 accumulated values to fp8
buffer_store_byte v156, v11, s[sgprSrdD:sgprSrdD+3], 0, offen, offset:128,  sc0 sc1 // store D
v_cmp_class_f32 s[34:35], v[vgprValuC+157], v10    // check NaN and +/-INF
v_med3_f32 v6, v[vgprValuC+157], v8, v9            // Clipping f32 value if exceeds the limit
v_cndmask_b32 v6, v6, v[vgprValuC+157], s[34:35]   // 
v_cvt_pk_bf8_f32  v157, v6, v6                     // convert f32 accumulated values to fp8
buffer_store_byte v157, v11, s[sgprSrdD:sgprSrdD+3], 0, offen, offset:160,  sc0 sc1 // store D
v_cmp_class_f32 s[34:35], v[vgprValuC+158], v10    // check NaN and +/-INF
v_med3_f32 v6, v[vgprValuC+158], v8, v9            // Clipping f32 value if exceeds the limit
v_cndmask_b32 v6, v6, v[vgprValuC+158], s[34:35]   // 
v_cvt_pk_bf8_f32  v158, v6, v6                     // convert f32 accumulated values to fp8
buffer_store_byte v158, v11, s[sgprSrdD:sgprSrdD+3], 0, offen, offset:192,  sc0 sc1 // store D
v_cmp_class_f32 s[34:35], v[vgprValuC+159], v10    // check NaN and +/-INF
v_med3_f32 v6, v[vgprValuC+159], v8, v9            // Clipping f32 value if exceeds the limit
v_cndmask_b32 v6, v6, v[vgprValuC+159], s[34:35]   // 
v_cvt_pk_bf8_f32  v159, v6, v6                     // convert f32 accumulated values to fp8
buffer_store_byte v159, v11, s[sgprSrdD:sgprSrdD+3], 0, offen, offset:224,  sc0 sc1 // store D
v_cmp_class_f32 s[34:35], v[vgprValuC+160], v10    // check NaN and +/-INF
v_med3_f32 v6, v[vgprValuC+160], v8, v9            // Clipping f32 value if exceeds the limit
v_cndmask_b32 v6, v6, v[vgprValuC+160], s[34:35]   // 
v_cvt_pk_bf8_f32  v160, v6, v6                     // convert f32 accumulated values to fp8
s_lshl_b32  s34, s[sgprStrideD1J], 0               // incToNextRow: Scale by BPE
	;; [unrolled: 43-line block ×3, first 2 shown]
s_add_u32  s[sgprSrdD+0], s[sgprSrdD+0], s34       // incToNextRow: gra SRD += inc(lower)
s_addc_u32  s[sgprSrdD+1], s[sgprSrdD+1], 0        // incToNextRow: gra SRD += inc(upper)
buffer_store_byte v168, v11, s[sgprSrdD:sgprSrdD+3], 0, offen, offset:0,  sc0 sc1 // store D
v_cmp_class_f32 s[34:35], v[vgprValuC+169], v10    // check NaN and +/-INF
v_med3_f32 v6, v[vgprValuC+169], v8, v9            // Clipping f32 value if exceeds the limit
v_cndmask_b32 v6, v6, v[vgprValuC+169], s[34:35]   // 
v_cvt_pk_bf8_f32  v169, v6, v6                     // convert f32 accumulated values to fp8
buffer_store_byte v169, v11, s[sgprSrdD:sgprSrdD+3], 0, offen, offset:32,  sc0 sc1 // store D
v_cmp_class_f32 s[34:35], v[vgprValuC+170], v10    // check NaN and +/-INF
v_med3_f32 v6, v[vgprValuC+170], v8, v9            // Clipping f32 value if exceeds the limit
v_cndmask_b32 v6, v6, v[vgprValuC+170], s[34:35]   // 
v_cvt_pk_bf8_f32  v170, v6, v6                     // convert f32 accumulated values to fp8
	;; [unrolled: 5-line block ×8, first 2 shown]
s_mul_i32 s34, s[sgprStrideD1J], 5                 // scale StrideD *= numRows(5) * bpe
s_add_u32  s[sgprSrdD+0], s[sgprSrdD+0], s34       // incToNextRow: gra SRD += inc(lower)
s_addc_u32  s[sgprSrdD+1], s[sgprSrdD+1], 0        // incToNextRow: gra SRD += inc(upper)
buffer_store_byte v176, v11, s[sgprSrdD:sgprSrdD+3], 0, offen, offset:0,  sc0 sc1 // store D
v_cmp_class_f32 s[34:35], v[vgprValuC+177], v10    // check NaN and +/-INF
v_med3_f32 v6, v[vgprValuC+177], v8, v9            // Clipping f32 value if exceeds the limit
v_cndmask_b32 v6, v6, v[vgprValuC+177], s[34:35]   // 
v_cvt_pk_bf8_f32  v177, v6, v6                     // convert f32 accumulated values to fp8
buffer_store_byte v177, v11, s[sgprSrdD:sgprSrdD+3], 0, offen, offset:32,  sc0 sc1 // store D
v_cmp_class_f32 s[34:35], v[vgprValuC+178], v10    // check NaN and +/-INF
v_med3_f32 v6, v[vgprValuC+178], v8, v9            // Clipping f32 value if exceeds the limit
v_cndmask_b32 v6, v6, v[vgprValuC+178], s[34:35]   // 
v_cvt_pk_bf8_f32  v178, v6, v6                     // convert f32 accumulated values to fp8
buffer_store_byte v178, v11, s[sgprSrdD:sgprSrdD+3], 0, offen, offset:64,  sc0 sc1 // store D
v_cmp_class_f32 s[34:35], v[vgprValuC+179], v10    // check NaN and +/-INF
v_med3_f32 v6, v[vgprValuC+179], v8, v9            // Clipping f32 value if exceeds the limit
v_cndmask_b32 v6, v6, v[vgprValuC+179], s[34:35]   // 
v_cvt_pk_bf8_f32  v179, v6, v6                     // convert f32 accumulated values to fp8
buffer_store_byte v179, v11, s[sgprSrdD:sgprSrdD+3], 0, offen, offset:96,  sc0 sc1 // store D
v_cmp_class_f32 s[34:35], v[vgprValuC+180], v10    // check NaN and +/-INF
v_med3_f32 v6, v[vgprValuC+180], v8, v9            // Clipping f32 value if exceeds the limit
v_cndmask_b32 v6, v6, v[vgprValuC+180], s[34:35]   // 
v_cvt_pk_bf8_f32  v180, v6, v6                     // convert f32 accumulated values to fp8
buffer_store_byte v180, v11, s[sgprSrdD:sgprSrdD+3], 0, offen, offset:128,  sc0 sc1 // store D
v_cmp_class_f32 s[34:35], v[vgprValuC+181], v10    // check NaN and +/-INF
v_med3_f32 v6, v[vgprValuC+181], v8, v9            // Clipping f32 value if exceeds the limit
v_cndmask_b32 v6, v6, v[vgprValuC+181], s[34:35]   // 
v_cvt_pk_bf8_f32  v181, v6, v6                     // convert f32 accumulated values to fp8
buffer_store_byte v181, v11, s[sgprSrdD:sgprSrdD+3], 0, offen, offset:160,  sc0 sc1 // store D
v_cmp_class_f32 s[34:35], v[vgprValuC+182], v10    // check NaN and +/-INF
v_med3_f32 v6, v[vgprValuC+182], v8, v9            // Clipping f32 value if exceeds the limit
v_cndmask_b32 v6, v6, v[vgprValuC+182], s[34:35]   // 
v_cvt_pk_bf8_f32  v182, v6, v6                     // convert f32 accumulated values to fp8
buffer_store_byte v182, v11, s[sgprSrdD:sgprSrdD+3], 0, offen, offset:192,  sc0 sc1 // store D
v_cmp_class_f32 s[34:35], v[vgprValuC+183], v10    // check NaN and +/-INF
v_med3_f32 v6, v[vgprValuC+183], v8, v9            // Clipping f32 value if exceeds the limit
v_cndmask_b32 v6, v6, v[vgprValuC+183], s[34:35]   // 
v_cvt_pk_bf8_f32  v183, v6, v6                     // convert f32 accumulated values to fp8
buffer_store_byte v183, v11, s[sgprSrdD:sgprSrdD+3], 0, offen, offset:224,  sc0 sc1 // store D
v_cmp_class_f32 s[34:35], v[vgprValuC+184], v10    // check NaN and +/-INF
v_med3_f32 v6, v[vgprValuC+184], v8, v9            // Clipping f32 value if exceeds the limit
v_cndmask_b32 v6, v6, v[vgprValuC+184], s[34:35]   // 
v_cvt_pk_bf8_f32  v184, v6, v6                     // convert f32 accumulated values to fp8
s_lshl_b32  s34, s[sgprStrideD1J], 0               // incToNextRow: Scale by BPE
s_add_u32  s[sgprSrdD+0], s[sgprSrdD+0], s34       // incToNextRow: gra SRD += inc(lower)
s_addc_u32  s[sgprSrdD+1], s[sgprSrdD+1], 0        // incToNextRow: gra SRD += inc(upper)
buffer_store_byte v184, v11, s[sgprSrdD:sgprSrdD+3], 0, offen, offset:0,  sc0 sc1 // store D
v_cmp_class_f32 s[34:35], v[vgprValuC+185], v10    // check NaN and +/-INF
v_med3_f32 v6, v[vgprValuC+185], v8, v9            // Clipping f32 value if exceeds the limit
v_cndmask_b32 v6, v6, v[vgprValuC+185], s[34:35]   // 
v_cvt_pk_bf8_f32  v185, v6, v6                     // convert f32 accumulated values to fp8
buffer_store_byte v185, v11, s[sgprSrdD:sgprSrdD+3], 0, offen, offset:32,  sc0 sc1 // store D
v_cmp_class_f32 s[34:35], v[vgprValuC+186], v10    // check NaN and +/-INF
v_med3_f32 v6, v[vgprValuC+186], v8, v9            // Clipping f32 value if exceeds the limit
v_cndmask_b32 v6, v6, v[vgprValuC+186], s[34:35]   // 
v_cvt_pk_bf8_f32  v186, v6, v6                     // convert f32 accumulated values to fp8
buffer_store_byte v186, v11, s[sgprSrdD:sgprSrdD+3], 0, offen, offset:64,  sc0 sc1 // store D
v_cmp_class_f32 s[34:35], v[vgprValuC+187], v10    // check NaN and +/-INF
v_med3_f32 v6, v[vgprValuC+187], v8, v9            // Clipping f32 value if exceeds the limit
v_cndmask_b32 v6, v6, v[vgprValuC+187], s[34:35]   // 
v_cvt_pk_bf8_f32  v187, v6, v6                     // convert f32 accumulated values to fp8
buffer_store_byte v187, v11, s[sgprSrdD:sgprSrdD+3], 0, offen, offset:96,  sc0 sc1 // store D
v_cmp_class_f32 s[34:35], v[vgprValuC+188], v10    // check NaN and +/-INF
v_med3_f32 v6, v[vgprValuC+188], v8, v9            // Clipping f32 value if exceeds the limit
v_cndmask_b32 v6, v6, v[vgprValuC+188], s[34:35]   // 
v_cvt_pk_bf8_f32  v188, v6, v6                     // convert f32 accumulated values to fp8
buffer_store_byte v188, v11, s[sgprSrdD:sgprSrdD+3], 0, offen, offset:128,  sc0 sc1 // store D
v_cmp_class_f32 s[34:35], v[vgprValuC+189], v10    // check NaN and +/-INF
v_med3_f32 v6, v[vgprValuC+189], v8, v9            // Clipping f32 value if exceeds the limit
v_cndmask_b32 v6, v6, v[vgprValuC+189], s[34:35]   // 
v_cvt_pk_bf8_f32  v189, v6, v6                     // convert f32 accumulated values to fp8
buffer_store_byte v189, v11, s[sgprSrdD:sgprSrdD+3], 0, offen, offset:160,  sc0 sc1 // store D
v_cmp_class_f32 s[34:35], v[vgprValuC+190], v10    // check NaN and +/-INF
v_med3_f32 v6, v[vgprValuC+190], v8, v9            // Clipping f32 value if exceeds the limit
v_cndmask_b32 v6, v6, v[vgprValuC+190], s[34:35]   // 
v_cvt_pk_bf8_f32  v190, v6, v6                     // convert f32 accumulated values to fp8
buffer_store_byte v190, v11, s[sgprSrdD:sgprSrdD+3], 0, offen, offset:192,  sc0 sc1 // store D
v_cmp_class_f32 s[34:35], v[vgprValuC+191], v10    // check NaN and +/-INF
v_med3_f32 v6, v[vgprValuC+191], v8, v9            // Clipping f32 value if exceeds the limit
v_cndmask_b32 v6, v6, v[vgprValuC+191], s[34:35]   // 
v_cvt_pk_bf8_f32  v191, v6, v6                     // convert f32 accumulated values to fp8
buffer_store_byte v191, v11, s[sgprSrdD:sgprSrdD+3], 0, offen, offset:224,  sc0 sc1 // store D
v_cmp_class_f32 s[34:35], v[vgprValuC+192], v10    // check NaN and +/-INF
v_med3_f32 v6, v[vgprValuC+192], v8, v9            // Clipping f32 value if exceeds the limit
v_cndmask_b32 v6, v6, v[vgprValuC+192], s[34:35]   // 
v_cvt_pk_bf8_f32  v192, v6, v6                     // convert f32 accumulated values to fp8
s_lshl_b32  s34, s[sgprStrideD1J], 0               // incToNextRow: Scale by BPE
	;; [unrolled: 43-line block ×3, first 2 shown]
s_add_u32  s[sgprSrdD+0], s[sgprSrdD+0], s34       // incToNextRow: gra SRD += inc(lower)
s_addc_u32  s[sgprSrdD+1], s[sgprSrdD+1], 0        // incToNextRow: gra SRD += inc(upper)
buffer_store_byte v200, v11, s[sgprSrdD:sgprSrdD+3], 0, offen, offset:0,  sc0 sc1 // store D
v_cmp_class_f32 s[34:35], v[vgprValuC+201], v10    // check NaN and +/-INF
v_med3_f32 v6, v[vgprValuC+201], v8, v9            // Clipping f32 value if exceeds the limit
v_cndmask_b32 v6, v6, v[vgprValuC+201], s[34:35]   // 
v_cvt_pk_bf8_f32  v201, v6, v6                     // convert f32 accumulated values to fp8
buffer_store_byte v201, v11, s[sgprSrdD:sgprSrdD+3], 0, offen, offset:32,  sc0 sc1 // store D
v_cmp_class_f32 s[34:35], v[vgprValuC+202], v10    // check NaN and +/-INF
v_med3_f32 v6, v[vgprValuC+202], v8, v9            // Clipping f32 value if exceeds the limit
v_cndmask_b32 v6, v6, v[vgprValuC+202], s[34:35]   // 
v_cvt_pk_bf8_f32  v202, v6, v6                     // convert f32 accumulated values to fp8
buffer_store_byte v202, v11, s[sgprSrdD:sgprSrdD+3], 0, offen, offset:64,  sc0 sc1 // store D
v_cmp_class_f32 s[34:35], v[vgprValuC+203], v10    // check NaN and +/-INF
v_med3_f32 v6, v[vgprValuC+203], v8, v9            // Clipping f32 value if exceeds the limit
v_cndmask_b32 v6, v6, v[vgprValuC+203], s[34:35]   // 
v_cvt_pk_bf8_f32  v203, v6, v6                     // convert f32 accumulated values to fp8
buffer_store_byte v203, v11, s[sgprSrdD:sgprSrdD+3], 0, offen, offset:96,  sc0 sc1 // store D
v_cmp_class_f32 s[34:35], v[vgprValuC+204], v10    // check NaN and +/-INF
v_med3_f32 v6, v[vgprValuC+204], v8, v9            // Clipping f32 value if exceeds the limit
v_cndmask_b32 v6, v6, v[vgprValuC+204], s[34:35]   // 
v_cvt_pk_bf8_f32  v204, v6, v6                     // convert f32 accumulated values to fp8
buffer_store_byte v204, v11, s[sgprSrdD:sgprSrdD+3], 0, offen, offset:128,  sc0 sc1 // store D
v_cmp_class_f32 s[34:35], v[vgprValuC+205], v10    // check NaN and +/-INF
v_med3_f32 v6, v[vgprValuC+205], v8, v9            // Clipping f32 value if exceeds the limit
v_cndmask_b32 v6, v6, v[vgprValuC+205], s[34:35]   // 
v_cvt_pk_bf8_f32  v205, v6, v6                     // convert f32 accumulated values to fp8
buffer_store_byte v205, v11, s[sgprSrdD:sgprSrdD+3], 0, offen, offset:160,  sc0 sc1 // store D
v_cmp_class_f32 s[34:35], v[vgprValuC+206], v10    // check NaN and +/-INF
v_med3_f32 v6, v[vgprValuC+206], v8, v9            // Clipping f32 value if exceeds the limit
v_cndmask_b32 v6, v6, v[vgprValuC+206], s[34:35]   // 
v_cvt_pk_bf8_f32  v206, v6, v6                     // convert f32 accumulated values to fp8
buffer_store_byte v206, v11, s[sgprSrdD:sgprSrdD+3], 0, offen, offset:192,  sc0 sc1 // store D
v_cmp_class_f32 s[34:35], v[vgprValuC+207], v10    // check NaN and +/-INF
v_med3_f32 v6, v[vgprValuC+207], v8, v9            // Clipping f32 value if exceeds the limit
v_cndmask_b32 v6, v6, v[vgprValuC+207], s[34:35]   // 
v_cvt_pk_bf8_f32  v207, v6, v6                     // convert f32 accumulated values to fp8
buffer_store_byte v207, v11, s[sgprSrdD:sgprSrdD+3], 0, offen, offset:224,  sc0 sc1 // store D
v_cmp_class_f32 s[34:35], v[vgprValuC+208], v10    // check NaN and +/-INF
v_med3_f32 v6, v[vgprValuC+208], v8, v9            // Clipping f32 value if exceeds the limit
v_cndmask_b32 v6, v6, v[vgprValuC+208], s[34:35]   // 
v_cvt_pk_bf8_f32  v208, v6, v6                     // convert f32 accumulated values to fp8
s_mul_i32 s34, s[sgprStrideD1J], 5                 // scale StrideD *= numRows(5) * bpe
s_add_u32  s[sgprSrdD+0], s[sgprSrdD+0], s34       // incToNextRow: gra SRD += inc(lower)
s_addc_u32  s[sgprSrdD+1], s[sgprSrdD+1], 0        // incToNextRow: gra SRD += inc(upper)
buffer_store_byte v208, v11, s[sgprSrdD:sgprSrdD+3], 0, offen, offset:0,  sc0 sc1 // store D
v_cmp_class_f32 s[34:35], v[vgprValuC+209], v10    // check NaN and +/-INF
v_med3_f32 v6, v[vgprValuC+209], v8, v9            // Clipping f32 value if exceeds the limit
v_cndmask_b32 v6, v6, v[vgprValuC+209], s[34:35]   // 
v_cvt_pk_bf8_f32  v209, v6, v6                     // convert f32 accumulated values to fp8
buffer_store_byte v209, v11, s[sgprSrdD:sgprSrdD+3], 0, offen, offset:32,  sc0 sc1 // store D
v_cmp_class_f32 s[34:35], v[vgprValuC+210], v10    // check NaN and +/-INF
v_med3_f32 v6, v[vgprValuC+210], v8, v9            // Clipping f32 value if exceeds the limit
v_cndmask_b32 v6, v6, v[vgprValuC+210], s[34:35]   // 
v_cvt_pk_bf8_f32  v210, v6, v6                     // convert f32 accumulated values to fp8
buffer_store_byte v210, v11, s[sgprSrdD:sgprSrdD+3], 0, offen, offset:64,  sc0 sc1 // store D
v_cmp_class_f32 s[34:35], v[vgprValuC+211], v10    // check NaN and +/-INF
v_med3_f32 v6, v[vgprValuC+211], v8, v9            // Clipping f32 value if exceeds the limit
v_cndmask_b32 v6, v6, v[vgprValuC+211], s[34:35]   // 
v_cvt_pk_bf8_f32  v211, v6, v6                     // convert f32 accumulated values to fp8
buffer_store_byte v211, v11, s[sgprSrdD:sgprSrdD+3], 0, offen, offset:96,  sc0 sc1 // store D
v_cmp_class_f32 s[34:35], v[vgprValuC+212], v10    // check NaN and +/-INF
v_med3_f32 v6, v[vgprValuC+212], v8, v9            // Clipping f32 value if exceeds the limit
v_cndmask_b32 v6, v6, v[vgprValuC+212], s[34:35]   // 
v_cvt_pk_bf8_f32  v212, v6, v6                     // convert f32 accumulated values to fp8
buffer_store_byte v212, v11, s[sgprSrdD:sgprSrdD+3], 0, offen, offset:128,  sc0 sc1 // store D
v_cmp_class_f32 s[34:35], v[vgprValuC+213], v10    // check NaN and +/-INF
v_med3_f32 v6, v[vgprValuC+213], v8, v9            // Clipping f32 value if exceeds the limit
v_cndmask_b32 v6, v6, v[vgprValuC+213], s[34:35]   // 
v_cvt_pk_bf8_f32  v213, v6, v6                     // convert f32 accumulated values to fp8
buffer_store_byte v213, v11, s[sgprSrdD:sgprSrdD+3], 0, offen, offset:160,  sc0 sc1 // store D
v_cmp_class_f32 s[34:35], v[vgprValuC+214], v10    // check NaN and +/-INF
v_med3_f32 v6, v[vgprValuC+214], v8, v9            // Clipping f32 value if exceeds the limit
v_cndmask_b32 v6, v6, v[vgprValuC+214], s[34:35]   // 
v_cvt_pk_bf8_f32  v214, v6, v6                     // convert f32 accumulated values to fp8
buffer_store_byte v214, v11, s[sgprSrdD:sgprSrdD+3], 0, offen, offset:192,  sc0 sc1 // store D
v_cmp_class_f32 s[34:35], v[vgprValuC+215], v10    // check NaN and +/-INF
v_med3_f32 v6, v[vgprValuC+215], v8, v9            // Clipping f32 value if exceeds the limit
v_cndmask_b32 v6, v6, v[vgprValuC+215], s[34:35]   // 
v_cvt_pk_bf8_f32  v215, v6, v6                     // convert f32 accumulated values to fp8
buffer_store_byte v215, v11, s[sgprSrdD:sgprSrdD+3], 0, offen, offset:224,  sc0 sc1 // store D
v_cmp_class_f32 s[34:35], v[vgprValuC+216], v10    // check NaN and +/-INF
v_med3_f32 v6, v[vgprValuC+216], v8, v9            // Clipping f32 value if exceeds the limit
v_cndmask_b32 v6, v6, v[vgprValuC+216], s[34:35]   // 
v_cvt_pk_bf8_f32  v216, v6, v6                     // convert f32 accumulated values to fp8
s_lshl_b32  s34, s[sgprStrideD1J], 0               // incToNextRow: Scale by BPE
s_add_u32  s[sgprSrdD+0], s[sgprSrdD+0], s34       // incToNextRow: gra SRD += inc(lower)
s_addc_u32  s[sgprSrdD+1], s[sgprSrdD+1], 0        // incToNextRow: gra SRD += inc(upper)
buffer_store_byte v216, v11, s[sgprSrdD:sgprSrdD+3], 0, offen, offset:0,  sc0 sc1 // store D
v_cmp_class_f32 s[34:35], v[vgprValuC+217], v10    // check NaN and +/-INF
v_med3_f32 v6, v[vgprValuC+217], v8, v9            // Clipping f32 value if exceeds the limit
v_cndmask_b32 v6, v6, v[vgprValuC+217], s[34:35]   // 
v_cvt_pk_bf8_f32  v217, v6, v6                     // convert f32 accumulated values to fp8
buffer_store_byte v217, v11, s[sgprSrdD:sgprSrdD+3], 0, offen, offset:32,  sc0 sc1 // store D
v_cmp_class_f32 s[34:35], v[vgprValuC+218], v10    // check NaN and +/-INF
v_med3_f32 v6, v[vgprValuC+218], v8, v9            // Clipping f32 value if exceeds the limit
v_cndmask_b32 v6, v6, v[vgprValuC+218], s[34:35]   // 
v_cvt_pk_bf8_f32  v218, v6, v6                     // convert f32 accumulated values to fp8
buffer_store_byte v218, v11, s[sgprSrdD:sgprSrdD+3], 0, offen, offset:64,  sc0 sc1 // store D
v_cmp_class_f32 s[34:35], v[vgprValuC+219], v10    // check NaN and +/-INF
v_med3_f32 v6, v[vgprValuC+219], v8, v9            // Clipping f32 value if exceeds the limit
v_cndmask_b32 v6, v6, v[vgprValuC+219], s[34:35]   // 
v_cvt_pk_bf8_f32  v219, v6, v6                     // convert f32 accumulated values to fp8
buffer_store_byte v219, v11, s[sgprSrdD:sgprSrdD+3], 0, offen, offset:96,  sc0 sc1 // store D
v_cmp_class_f32 s[34:35], v[vgprValuC+220], v10    // check NaN and +/-INF
v_med3_f32 v6, v[vgprValuC+220], v8, v9            // Clipping f32 value if exceeds the limit
v_cndmask_b32 v6, v6, v[vgprValuC+220], s[34:35]   // 
v_cvt_pk_bf8_f32  v220, v6, v6                     // convert f32 accumulated values to fp8
buffer_store_byte v220, v11, s[sgprSrdD:sgprSrdD+3], 0, offen, offset:128,  sc0 sc1 // store D
v_cmp_class_f32 s[34:35], v[vgprValuC+221], v10    // check NaN and +/-INF
v_med3_f32 v6, v[vgprValuC+221], v8, v9            // Clipping f32 value if exceeds the limit
v_cndmask_b32 v6, v6, v[vgprValuC+221], s[34:35]   // 
v_cvt_pk_bf8_f32  v221, v6, v6                     // convert f32 accumulated values to fp8
buffer_store_byte v221, v11, s[sgprSrdD:sgprSrdD+3], 0, offen, offset:160,  sc0 sc1 // store D
v_cmp_class_f32 s[34:35], v[vgprValuC+222], v10    // check NaN and +/-INF
v_med3_f32 v6, v[vgprValuC+222], v8, v9            // Clipping f32 value if exceeds the limit
v_cndmask_b32 v6, v6, v[vgprValuC+222], s[34:35]   // 
v_cvt_pk_bf8_f32  v222, v6, v6                     // convert f32 accumulated values to fp8
buffer_store_byte v222, v11, s[sgprSrdD:sgprSrdD+3], 0, offen, offset:192,  sc0 sc1 // store D
v_cmp_class_f32 s[34:35], v[vgprValuC+223], v10    // check NaN and +/-INF
v_med3_f32 v6, v[vgprValuC+223], v8, v9            // Clipping f32 value if exceeds the limit
v_cndmask_b32 v6, v6, v[vgprValuC+223], s[34:35]   // 
v_cvt_pk_bf8_f32  v223, v6, v6                     // convert f32 accumulated values to fp8
buffer_store_byte v223, v11, s[sgprSrdD:sgprSrdD+3], 0, offen, offset:224,  sc0 sc1 // store D
v_cmp_class_f32 s[34:35], v[vgprValuC+224], v10    // check NaN and +/-INF
v_med3_f32 v6, v[vgprValuC+224], v8, v9            // Clipping f32 value if exceeds the limit
v_cndmask_b32 v6, v6, v[vgprValuC+224], s[34:35]   // 
v_cvt_pk_bf8_f32  v224, v6, v6                     // convert f32 accumulated values to fp8
s_lshl_b32  s34, s[sgprStrideD1J], 0               // incToNextRow: Scale by BPE
	;; [unrolled: 43-line block ×3, first 2 shown]
s_add_u32  s[sgprSrdD+0], s[sgprSrdD+0], s34       // incToNextRow: gra SRD += inc(lower)
s_addc_u32  s[sgprSrdD+1], s[sgprSrdD+1], 0        // incToNextRow: gra SRD += inc(upper)
buffer_store_byte v232, v11, s[sgprSrdD:sgprSrdD+3], 0, offen, offset:0,  sc0 sc1 // store D
v_cmp_class_f32 s[34:35], v[vgprValuC+233], v10    // check NaN and +/-INF
v_med3_f32 v6, v[vgprValuC+233], v8, v9            // Clipping f32 value if exceeds the limit
v_cndmask_b32 v6, v6, v[vgprValuC+233], s[34:35]   // 
v_cvt_pk_bf8_f32  v233, v6, v6                     // convert f32 accumulated values to fp8
buffer_store_byte v233, v11, s[sgprSrdD:sgprSrdD+3], 0, offen, offset:32,  sc0 sc1 // store D
v_cmp_class_f32 s[34:35], v[vgprValuC+234], v10    // check NaN and +/-INF
v_med3_f32 v6, v[vgprValuC+234], v8, v9            // Clipping f32 value if exceeds the limit
v_cndmask_b32 v6, v6, v[vgprValuC+234], s[34:35]   // 
v_cvt_pk_bf8_f32  v234, v6, v6                     // convert f32 accumulated values to fp8
	;; [unrolled: 5-line block ×8, first 2 shown]
s_mul_i32 s34, s[sgprStrideD1J], 5                 // scale StrideD *= numRows(5) * bpe
s_add_u32  s[sgprSrdD+0], s[sgprSrdD+0], s34       // incToNextRow: gra SRD += inc(lower)
s_addc_u32  s[sgprSrdD+1], s[sgprSrdD+1], 0        // incToNextRow: gra SRD += inc(upper)
buffer_store_byte v240, v11, s[sgprSrdD:sgprSrdD+3], 0, offen, offset:0,  sc0 sc1 // store D
v_cmp_class_f32 s[34:35], v[vgprValuC+241], v10    // check NaN and +/-INF
v_med3_f32 v6, v[vgprValuC+241], v8, v9            // Clipping f32 value if exceeds the limit
v_cndmask_b32 v6, v6, v[vgprValuC+241], s[34:35]   // 
v_cvt_pk_bf8_f32  v241, v6, v6                     // convert f32 accumulated values to fp8
buffer_store_byte v241, v11, s[sgprSrdD:sgprSrdD+3], 0, offen, offset:32,  sc0 sc1 // store D
v_cmp_class_f32 s[34:35], v[vgprValuC+242], v10    // check NaN and +/-INF
v_med3_f32 v6, v[vgprValuC+242], v8, v9            // Clipping f32 value if exceeds the limit
v_cndmask_b32 v6, v6, v[vgprValuC+242], s[34:35]   // 
v_cvt_pk_bf8_f32  v242, v6, v6                     // convert f32 accumulated values to fp8
	;; [unrolled: 5-line block ×8, first 2 shown]
s_lshl_b32  s34, s[sgprStrideD1J], 0               // incToNextRow: Scale by BPE
s_add_u32  s[sgprSrdD+0], s[sgprSrdD+0], s34       // incToNextRow: gra SRD += inc(lower)
s_addc_u32  s[sgprSrdD+1], s[sgprSrdD+1], 0        // incToNextRow: gra SRD += inc(upper)
buffer_store_byte v248, v11, s[sgprSrdD:sgprSrdD+3], 0, offen, offset:0,  sc0 sc1 // store D
v_cmp_class_f32 s[34:35], v[vgprValuC+249], v10    // check NaN and +/-INF
v_med3_f32 v6, v[vgprValuC+249], v8, v9            // Clipping f32 value if exceeds the limit
v_cndmask_b32 v6, v6, v[vgprValuC+249], s[34:35]   // 
v_cvt_pk_bf8_f32  v249, v6, v6                     // convert f32 accumulated values to fp8
buffer_store_byte v249, v11, s[sgprSrdD:sgprSrdD+3], 0, offen, offset:32,  sc0 sc1 // store D
v_cmp_class_f32 s[34:35], v[vgprValuC+250], v10    // check NaN and +/-INF
v_med3_f32 v6, v[vgprValuC+250], v8, v9            // Clipping f32 value if exceeds the limit
v_cndmask_b32 v6, v6, v[vgprValuC+250], s[34:35]   // 
v_cvt_pk_bf8_f32  v250, v6, v6                     // convert f32 accumulated values to fp8
	;; [unrolled: 5-line block ×7, first 2 shown]
buffer_store_byte v255, v11, s[sgprSrdD:sgprSrdD+3], 0, offen, offset:224,  sc0 sc1 // store D
s_nop 0                                            // 1 wait state required when next inst writes vgprs held by previous dwordx4 store inst
/* optSingleColVgpr=1 optSharedColVgpr=0 optSGPRUsage=BufferLoad_Mask optSrdIncForRow=1 */
s_sleep 3 // optimization: sync and wait
s_barrier

/******************************************/
/* Global Write Batch #1 (d1,d0,vc1,vc0) = */
/*    (7,0,2,0:vw1); (7,1,2,0:vw1); (7,2,2,0:vw1); (7,3,2,0:vw1); (7,4,2,0:vw1); (7,5,2,0:vw1); (7,6,2,0:vw1); (7,7,2,0:vw1); (7,0,3,0:vw1); (7,1,3,0:vw1); (7,2,3,0:vw1); (7,3,3,0:vw1); (7,4,3,0:vw1); (7,5,3,0:vw1); (7,6,3,0:vw1); (7,7,3,0:vw1) */
/******************************************/

/* calc coords, apply mask, and issue loads (if necessary) */
/* (d1,vc1,d0,vc0)=(7,2,0,0) */
/* (d1,vc1,d0,vc0)=(7,2,1,0) */
	;; [unrolled: 1-line block ×16, first 2 shown]
v_accvgpr_read_b32 v[vgprValuC+13], acc142 // copy acc to vreg[240]
v_accvgpr_read_b32 v[vgprValuC+14], acc158 // copy acc to vreg[241]
v_accvgpr_read_b32 v[vgprValuC+15], acc174 // copy acc to vreg[242]
v_accvgpr_read_b32 v[vgprValuC+16], acc190 // copy acc to vreg[243]
v_accvgpr_read_b32 v[vgprValuC+17], acc206 // copy acc to vreg[244]
v_accvgpr_read_b32 v[vgprValuC+18], acc222 // copy acc to vreg[245]
v_accvgpr_read_b32 v[vgprValuC+19], acc238 // copy acc to vreg[246]
v_accvgpr_read_b32 v[vgprValuC+20], acc254 // copy acc to vreg[247]
v_accvgpr_read_b32 v[vgprValuC+21], acc143 // copy acc to vreg[248]
v_accvgpr_read_b32 v[vgprValuC+22], acc159 // copy acc to vreg[249]
v_accvgpr_read_b32 v[vgprValuC+23], acc175 // copy acc to vreg[250]
v_accvgpr_read_b32 v[vgprValuC+24], acc191 // copy acc to vreg[251]
v_accvgpr_read_b32 v[vgprValuC+25], acc207 // copy acc to vreg[252]
v_accvgpr_read_b32 v[vgprValuC+26], acc223 // copy acc to vreg[253]
v_accvgpr_read_b32 v[vgprValuC+27], acc239 // copy acc to vreg[254]
v_accvgpr_read_b32 v[vgprValuC+28], acc255 // copy acc to vreg[255]
s_nop 1                                            // 2 wait states required before reading vgpr

/* apply mask, calc new C and issue writes */
v_mov_b32 v10, 0x207                               // flag for Nan and +/- inf
v_mov_b32 v8, 0x47600000                           // save 57344.0f as max for clipping
v_mov_b32 v9, 0xC7600000                           // save -57344`.0f as min for clipping
v_cmp_class_f32 s[34:35], v[vgprValuC+13], v10     // check NaN and +/-INF
v_med3_f32 v6, v[vgprValuC+13], v8, v9             // Clipping f32 value if exceeds the limit
v_cndmask_b32 v6, v6, v[vgprValuC+13], s[34:35]    // 
v_cvt_pk_bf8_f32  v13, v6, v6                      // convert f32 accumulated values to fp8
s_lshl_b32  s34, s[sgprStrideD1J], 0               // incToNextRow: Scale by BPE
s_add_u32  s[sgprSrdD+0], s[sgprSrdD+0], s34       // incToNextRow: gra SRD += inc(lower)
s_addc_u32  s[sgprSrdD+1], s[sgprSrdD+1], 0        // incToNextRow: gra SRD += inc(upper)
buffer_store_byte v13, v11, s[sgprSrdD:sgprSrdD+3], 0, offen, offset:0,  sc0 sc1 // store D
v_cmp_class_f32 s[34:35], v[vgprValuC+14], v10     // check NaN and +/-INF
v_med3_f32 v6, v[vgprValuC+14], v8, v9             // Clipping f32 value if exceeds the limit
v_cndmask_b32 v6, v6, v[vgprValuC+14], s[34:35]    // 
v_cvt_pk_bf8_f32  v14, v6, v6                      // convert f32 accumulated values to fp8
buffer_store_byte v14, v11, s[sgprSrdD:sgprSrdD+3], 0, offen, offset:32,  sc0 sc1 // store D
v_cmp_class_f32 s[34:35], v[vgprValuC+15], v10     // check NaN and +/-INF
v_med3_f32 v6, v[vgprValuC+15], v8, v9             // Clipping f32 value if exceeds the limit
v_cndmask_b32 v6, v6, v[vgprValuC+15], s[34:35]    // 
v_cvt_pk_bf8_f32  v15, v6, v6                      // convert f32 accumulated values to fp8
buffer_store_byte v15, v11, s[sgprSrdD:sgprSrdD+3], 0, offen, offset:64,  sc0 sc1 // store D
v_cmp_class_f32 s[34:35], v[vgprValuC+16], v10     // check NaN and +/-INF
v_med3_f32 v6, v[vgprValuC+16], v8, v9             // Clipping f32 value if exceeds the limit
v_cndmask_b32 v6, v6, v[vgprValuC+16], s[34:35]    // 
v_cvt_pk_bf8_f32  v16, v6, v6                      // convert f32 accumulated values to fp8
buffer_store_byte v16, v11, s[sgprSrdD:sgprSrdD+3], 0, offen, offset:96,  sc0 sc1 // store D
v_cmp_class_f32 s[34:35], v[vgprValuC+17], v10     // check NaN and +/-INF
v_med3_f32 v6, v[vgprValuC+17], v8, v9             // Clipping f32 value if exceeds the limit
v_cndmask_b32 v6, v6, v[vgprValuC+17], s[34:35]    // 
v_cvt_pk_bf8_f32  v17, v6, v6                      // convert f32 accumulated values to fp8
buffer_store_byte v17, v11, s[sgprSrdD:sgprSrdD+3], 0, offen, offset:128,  sc0 sc1 // store D
v_cmp_class_f32 s[34:35], v[vgprValuC+18], v10     // check NaN and +/-INF
v_med3_f32 v6, v[vgprValuC+18], v8, v9             // Clipping f32 value if exceeds the limit
v_cndmask_b32 v6, v6, v[vgprValuC+18], s[34:35]    // 
v_cvt_pk_bf8_f32  v18, v6, v6                      // convert f32 accumulated values to fp8
buffer_store_byte v18, v11, s[sgprSrdD:sgprSrdD+3], 0, offen, offset:160,  sc0 sc1 // store D
v_cmp_class_f32 s[34:35], v[vgprValuC+19], v10     // check NaN and +/-INF
v_med3_f32 v6, v[vgprValuC+19], v8, v9             // Clipping f32 value if exceeds the limit
v_cndmask_b32 v6, v6, v[vgprValuC+19], s[34:35]    // 
v_cvt_pk_bf8_f32  v19, v6, v6                      // convert f32 accumulated values to fp8
buffer_store_byte v19, v11, s[sgprSrdD:sgprSrdD+3], 0, offen, offset:192,  sc0 sc1 // store D
v_cmp_class_f32 s[34:35], v[vgprValuC+20], v10     // check NaN and +/-INF
v_med3_f32 v6, v[vgprValuC+20], v8, v9             // Clipping f32 value if exceeds the limit
v_cndmask_b32 v6, v6, v[vgprValuC+20], s[34:35]    // 
v_cvt_pk_bf8_f32  v20, v6, v6                      // convert f32 accumulated values to fp8
buffer_store_byte v20, v11, s[sgprSrdD:sgprSrdD+3], 0, offen, offset:224,  sc0 sc1 // store D
v_cmp_class_f32 s[34:35], v[vgprValuC+21], v10     // check NaN and +/-INF
v_med3_f32 v6, v[vgprValuC+21], v8, v9             // Clipping f32 value if exceeds the limit
v_cndmask_b32 v6, v6, v[vgprValuC+21], s[34:35]    // 
v_cvt_pk_bf8_f32  v21, v6, v6                      // convert f32 accumulated values to fp8
s_lshl_b32  s34, s[sgprStrideD1J], 0               // incToNextRow: Scale by BPE
s_add_u32  s[sgprSrdD+0], s[sgprSrdD+0], s34       // incToNextRow: gra SRD += inc(lower)
s_addc_u32  s[sgprSrdD+1], s[sgprSrdD+1], 0        // incToNextRow: gra SRD += inc(upper)
buffer_store_byte v21, v11, s[sgprSrdD:sgprSrdD+3], 0, offen, offset:0,  sc0 sc1 // store D
v_cmp_class_f32 s[34:35], v[vgprValuC+22], v10     // check NaN and +/-INF
v_med3_f32 v6, v[vgprValuC+22], v8, v9             // Clipping f32 value if exceeds the limit
v_cndmask_b32 v6, v6, v[vgprValuC+22], s[34:35]    // 
v_cvt_pk_bf8_f32  v22, v6, v6                      // convert f32 accumulated values to fp8
buffer_store_byte v22, v11, s[sgprSrdD:sgprSrdD+3], 0, offen, offset:32,  sc0 sc1 // store D
v_cmp_class_f32 s[34:35], v[vgprValuC+23], v10     // check NaN and +/-INF
v_med3_f32 v6, v[vgprValuC+23], v8, v9             // Clipping f32 value if exceeds the limit
v_cndmask_b32 v6, v6, v[vgprValuC+23], s[34:35]    // 
v_cvt_pk_bf8_f32  v23, v6, v6                      // convert f32 accumulated values to fp8
	;; [unrolled: 5-line block ×7, first 2 shown]
buffer_store_byte v28, v11, s[sgprSrdD:sgprSrdD+3], 0, offen, offset:224,  sc0 sc1 // store D
s_nop 0                                            // 1 wait state required when next inst writes vgprs held by previous dwordx4 store inst
s_branch label_GW_End_23                           // jump to end
label_GW_End_23:

s_endpgm                                           // Kernel End
OptNLL_End_17:


/******************************************/
/* Ord. NoLoadLoop - Begin                                      */
/******************************************/


	;; [unrolled: 1-line block ×4, first 2 shown]
/* iter 0 (last unrolled loop) */

/*  grEndMfmaIndex:0, lwStartMfmaIndex:48, lwEndMfmaIndex:48  */
/*  numMfmaForLR:14, barrierMfmaIndex:49, LocalWritePerMfma:0.225 */
/*  mfmaIndex:0  */
s_waitcnt lgkmcnt(0)                               // lgkmcnt=0 vmcnt=-1wait for prior local read local write old=0, new=0 newLW=0 newLR=0
v_mfma_f32_32x32x16_bf8_bf8 a[0+0:15+0], v[vgprValuB_X0_I0+0+0+0:vgprValuB_X0_I0+0+0+0+1], v[vgprValuA_X0_I0+0+0+0:vgprValuA_X0_I0+0+0+0+1], a[0:15]
/*  mfmaIndex:1  */
_ds_load_b128 v[vgprValuA_X2_I0+0:vgprValuA_X2_I0+0+3], v[vgprLocalReadAddrA] offset:32 // L -> Reg lro=32 swapByteOffset=0 ti=32 vIdx=0 rIdx=0 oIdx=0 buffer=2 iui=0
v_mfma_f32_32x32x16_bf8_bf8 a[16+0:31+0], v[vgprValuB_X0_I0+0+0+0:vgprValuB_X0_I0+0+0+0+1], v[vgprValuA_X0_I0+4+0+0:vgprValuA_X0_I0+4+0+0+1], a[16:31]
/*  mfmaIndex:2  */
_ds_load_b128 v[vgprValuB_X2_I0+0:vgprValuB_X2_I0+0+3], v[vgprLocalReadAddrB] offset:32 // L -> Reg lro=32 swapByteOffset=0 ti=128 vIdx=0 rIdx=0 oIdx=0 buffer=2 iui=0
v_mfma_f32_32x32x16_bf8_bf8 a[32+0:47+0], v[vgprValuB_X0_I0+0+0+0:vgprValuB_X0_I0+0+0+0+1], v[vgprValuA_X0_I0+8+0+0:vgprValuA_X0_I0+8+0+0+1], a[32:47]
/*  mfmaIndex:3  */
_ds_load_b128 v[vgprValuA_X2_I0+4:vgprValuA_X2_I0+4+3], v[vgprLocalReadAddrA] offset:2336 // L -> Reg lro=32 swapByteOffset=0 ti=32 vIdx=1 rIdx=0 oIdx=0 buffer=2 iui=0
v_mfma_f32_32x32x16_bf8_bf8 a[48+0:63+0], v[vgprValuB_X0_I0+0+0+0:vgprValuB_X0_I0+0+0+0+1], v[vgprValuA_X0_I0+12+0+0:vgprValuA_X0_I0+12+0+0+1], a[48:63]
/*  mfmaIndex:4  */
_ds_load_b128 v[vgprValuA_X2_I0+8:vgprValuA_X2_I0+8+3], v[vgprLocalReadAddrA] offset:4640 // L -> Reg lro=32 swapByteOffset=0 ti=32 vIdx=2 rIdx=0 oIdx=0 buffer=2 iui=0
	;; [unrolled: 3-line block ×7, first 2 shown]
v_mfma_f32_32x32x16_bf8_bf8 a[224+0:239+0], v[vgprValuB_X0_I0+4+0+0:vgprValuB_X0_I0+4+0+0+1], v[vgprValuA_X0_I0+24+0+0:vgprValuA_X0_I0+24+0+0+1], a[224:239]
/*  mfmaIndex:10  */
_ds_load_b128 v[vgprValuB_X2_I0+4:vgprValuB_X2_I0+4+3], v[vgprLocalReadAddrB] offset:9248 // L -> Reg lro=32 swapByteOffset=0 ti=128 vIdx=1 rIdx=0 oIdx=0 buffer=2 iui=0
/* localReadsVacancy: latencyLeft 2 */
v_mfma_f32_32x32x16_bf8_bf8 a[208+0:223+0], v[vgprValuB_X0_I0+4+0+0:vgprValuB_X0_I0+4+0+0+1], v[vgprValuA_X0_I0+20+0+0:vgprValuA_X0_I0+20+0+0+1], a[208:223]
/*  mfmaIndex:11  */
/* localReadsVacancy: latencyLeft 6 */
v_mfma_f32_32x32x16_bf8_bf8 a[192+0:207+0], v[vgprValuB_X0_I0+4+0+0:vgprValuB_X0_I0+4+0+0+1], v[vgprValuA_X0_I0+16+0+0:vgprValuA_X0_I0+16+0+0+1], a[192:207]
/*  mfmaIndex:12  */
	;; [unrolled: 3-line block ×5, first 2 shown]
/* localReadsVacancy: latencyLeft 6 */
v_mfma_f32_32x32x16_bf8_bf8 a[128+0:143+0], v[vgprValuB_X0_I0+4+0+0:vgprValuB_X0_I0+4+0+0+1], v[vgprValuA_X0_I0+0+0+0:vgprValuA_X0_I0+0+0+0+1], a[128:143]
/* numPrefetchIter=0 */
/* dataAtIterA=-1 numReadsIterA=1 skipReadsIterA=1 readsPerIterA=8 */
/* dataAtIterB=-1 numReadsIterB=1 skipReadsIterB=1 readsPerIterB=2 */


/* iter 1 (last unrolled loop) */

/*  grEndMfmaIndex:0, lwStartMfmaIndex:48, lwEndMfmaIndex:48  */
/*  numMfmaForLR:14, barrierMfmaIndex:49, LocalWritePerMfma:0.225 */
/*  mfmaIndex:16  */
/* localReadsVacancy: latencyLeft 6 */
s_waitcnt lgkmcnt(10)                              // lgkmcnt=0 vmcnt=-1wait for prior local read local write old=0, new=10 newLW=0 newLR=10
v_mfma_f32_32x32x16_bf8_bf8 a[0+0:15+0], v[vgprValuB_X0_I0+0+2+0:vgprValuB_X0_I0+0+2+0+1], v[vgprValuA_X0_I0+0+2+0:vgprValuA_X0_I0+0+2+0+1], a[0:15]
/*  mfmaIndex:17  */
/* localReadsVacancy: latencyLeft 6 */
v_mfma_f32_32x32x16_bf8_bf8 a[16+0:31+0], v[vgprValuB_X0_I0+0+2+0:vgprValuB_X0_I0+0+2+0+1], v[vgprValuA_X0_I0+4+2+0:vgprValuA_X0_I0+4+2+0+1], a[16:31]
/*  mfmaIndex:18  */
/* localReadsVacancy: latencyLeft 6 */
	;; [unrolled: 3-line block ×15, first 2 shown]
v_mfma_f32_32x32x16_bf8_bf8 a[128+0:143+0], v[vgprValuB_X0_I0+4+2+0:vgprValuB_X0_I0+4+2+0+1], v[vgprValuA_X0_I0+0+2+0:vgprValuA_X0_I0+0+2+0+1], a[128:143]
/* numPrefetchIter=0 */
/* dataAtIterA=-1 numReadsIterA=1 skipReadsIterA=1 readsPerIterA=8 */
/* dataAtIterB=-1 numReadsIterB=1 skipReadsIterB=1 readsPerIterB=2 */


/* iter 2 (last unrolled loop) */

/*  grEndMfmaIndex:0, lwStartMfmaIndex:48, lwEndMfmaIndex:48  */
/*  numMfmaForLR:14, barrierMfmaIndex:49, LocalWritePerMfma:0.225 */
/*  mfmaIndex:32  */
/* localReadsVacancy: latencyLeft 6 */
s_waitcnt lgkmcnt(0)                               // lgkmcnt=0 vmcnt=-1wait for prior local read local write old=0, new=0 newLW=0 newLR=0
v_mfma_f32_32x32x16_bf8_bf8 a[0+0:15+0], v[vgprValuB_X2_I0+0+0+0:vgprValuB_X2_I0+0+0+0+1], v[vgprValuA_X2_I0+0+0+0:vgprValuA_X2_I0+0+0+0+1], a[0:15]
/*  mfmaIndex:33  */
/* localReadsVacancy: latencyLeft 6 */
v_mfma_f32_32x32x16_bf8_bf8 a[16+0:31+0], v[vgprValuB_X2_I0+0+0+0:vgprValuB_X2_I0+0+0+0+1], v[vgprValuA_X2_I0+4+0+0:vgprValuA_X2_I0+4+0+0+1], a[16:31]
/*  mfmaIndex:34  */
/* localReadsVacancy: latencyLeft 6 */
	;; [unrolled: 3-line block ×15, first 2 shown]
/* 1 LDS buffer: read-sync-write */
s_waitcnt lgkmcnt(0)                               // 
s_barrier                                          // 
v_mfma_f32_32x32x16_bf8_bf8 a[128+0:143+0], v[vgprValuB_X2_I0+4+0+0:vgprValuB_X2_I0+4+0+0+1], v[vgprValuA_X2_I0+0+0+0:vgprValuA_X2_I0+0+0+0+1], a[128:143]
/* numPrefetchIter=0 */
/* dataAtIterA=0 numReadsIterA=1 skipReadsIterA=0 readsPerIterA=8 */
/* dataAtIterB=0 numReadsIterB=1 skipReadsIterB=0 readsPerIterB=2 */


/* iter 3 (last unrolled loop) */

/*  grEndMfmaIndex:0, lwStartMfmaIndex:48, lwEndMfmaIndex:48  */
/*  numMfmaForLR:14, barrierMfmaIndex:49, LocalWritePerMfma:0.225 */
/*  mfmaIndex:48  */
s_setprio 3                                        // store optimization
s_waitcnt lgkmcnt(0)                               // lgkmcnt=0 vmcnt=-1wait for prior local read local write old=0, new=0 newLW=0 newLR=0
v_mfma_f32_32x32x16_bf8_bf8 a[0+0:15+0], v[vgprValuB_X2_I0+0+2+0:vgprValuB_X2_I0+0+2+0+1], v[vgprValuA_X2_I0+0+2+0:vgprValuA_X2_I0+0+2+0+1], a[0:15]
s_setprio 0                                        // store optimization
/*  mfmaIndex:49  */
v_mfma_f32_32x32x16_bf8_bf8 a[16+0:31+0], v[vgprValuB_X2_I0+0+2+0:vgprValuB_X2_I0+0+2+0+1], v[vgprValuA_X2_I0+4+2+0:vgprValuA_X2_I0+4+2+0+1], a[16:31]
/*  mfmaIndex:50  */
s_setprio 3                                        // store optimization
v_mfma_f32_32x32x16_bf8_bf8 a[32+0:47+0], v[vgprValuB_X2_I0+0+2+0:vgprValuB_X2_I0+0+2+0+1], v[vgprValuA_X2_I0+8+2+0:vgprValuA_X2_I0+8+2+0+1], a[32:47]
/*  mfmaIndex:51  */
v_mfma_f32_32x32x16_bf8_bf8 a[48+0:63+0], v[vgprValuB_X2_I0+0+2+0:vgprValuB_X2_I0+0+2+0+1], v[vgprValuA_X2_I0+12+2+0:vgprValuA_X2_I0+12+2+0+1], a[48:63]
/*  mfmaIndex:52  */
v_mfma_f32_32x32x16_bf8_bf8 a[64+0:79+0], v[vgprValuB_X2_I0+0+2+0:vgprValuB_X2_I0+0+2+0+1], v[vgprValuA_X2_I0+16+2+0:vgprValuA_X2_I0+16+2+0+1], a[64:79]
/*  mfmaIndex:53  */
v_mfma_f32_32x32x16_bf8_bf8 a[80+0:95+0], v[vgprValuB_X2_I0+0+2+0:vgprValuB_X2_I0+0+2+0+1], v[vgprValuA_X2_I0+20+2+0:vgprValuA_X2_I0+20+2+0+1], a[80:95]
/*  mfmaIndex:54  */
v_mfma_f32_32x32x16_bf8_bf8 a[96+0:111+0], v[vgprValuB_X2_I0+0+2+0:vgprValuB_X2_I0+0+2+0+1], v[vgprValuA_X2_I0+24+2+0:vgprValuA_X2_I0+24+2+0+1], a[96:111]
/*  mfmaIndex:55  */
v_mfma_f32_32x32x16_bf8_bf8 a[112+0:127+0], v[vgprValuB_X2_I0+0+2+0:vgprValuB_X2_I0+0+2+0+1], v[vgprValuA_X2_I0+28+2+0:vgprValuA_X2_I0+28+2+0+1], a[112:127]
/*  mfmaIndex:56  */
v_mfma_f32_32x32x16_bf8_bf8 a[240+0:255+0], v[vgprValuB_X2_I0+4+2+0:vgprValuB_X2_I0+4+2+0+1], v[vgprValuA_X2_I0+28+2+0:vgprValuA_X2_I0+28+2+0+1], a[240:255]
/*  mfmaIndex:57  */
v_mfma_f32_32x32x16_bf8_bf8 a[224+0:239+0], v[vgprValuB_X2_I0+4+2+0:vgprValuB_X2_I0+4+2+0+1], v[vgprValuA_X2_I0+24+2+0:vgprValuA_X2_I0+24+2+0+1], a[224:239]
/*  mfmaIndex:58  */
v_mfma_f32_32x32x16_bf8_bf8 a[208+0:223+0], v[vgprValuB_X2_I0+4+2+0:vgprValuB_X2_I0+4+2+0+1], v[vgprValuA_X2_I0+20+2+0:vgprValuA_X2_I0+20+2+0+1], a[208:223]
/*  mfmaIndex:59  */
v_mfma_f32_32x32x16_bf8_bf8 a[192+0:207+0], v[vgprValuB_X2_I0+4+2+0:vgprValuB_X2_I0+4+2+0+1], v[vgprValuA_X2_I0+16+2+0:vgprValuA_X2_I0+16+2+0+1], a[192:207]
/*  mfmaIndex:60  */
v_mfma_f32_32x32x16_bf8_bf8 a[176+0:191+0], v[vgprValuB_X2_I0+4+2+0:vgprValuB_X2_I0+4+2+0+1], v[vgprValuA_X2_I0+12+2+0:vgprValuA_X2_I0+12+2+0+1], a[176:191]
/*  mfmaIndex:61  */
v_mfma_f32_32x32x16_bf8_bf8 a[160+0:175+0], v[vgprValuB_X2_I0+4+2+0:vgprValuB_X2_I0+4+2+0+1], v[vgprValuA_X2_I0+8+2+0:vgprValuA_X2_I0+8+2+0+1], a[160:175]
/*  mfmaIndex:62  */
v_mfma_f32_32x32x16_bf8_bf8 a[144+0:159+0], v[vgprValuB_X2_I0+4+2+0:vgprValuB_X2_I0+4+2+0+1], v[vgprValuA_X2_I0+4+2+0:vgprValuA_X2_I0+4+2+0+1], a[144:159]
/*  mfmaIndex:63  */
v_mfma_f32_32x32x16_bf8_bf8 a[128+0:143+0], v[vgprValuB_X2_I0+4+2+0:vgprValuB_X2_I0+4+2+0+1], v[vgprValuA_X2_I0+0+2+0:vgprValuA_X2_I0+0+2+0+1], a[128:143]
/* numPrefetchIter=0 */
/* dataAtIterA=0 numReadsIterA=1 skipReadsIterA=0 readsPerIterA=8 */
/* dataAtIterB=0 numReadsIterB=1 skipReadsIterB=0 readsPerIterB=2 */

PrefetchGlobalLastIterEnd_5:

Summation_End_28:
s_setprio 0                                        // optimization store
/* endSummation: add vgpr [0...116) to pool */
.set NumFullBlocks, UNDEF
.set WgmRemainder1, UNDEF
.set MagicNumberWgmRemainder1, UNDEF
.set ScalarGlobalReadOffsetB, UNDEF

/* Mapping of Acc register -> C Vgpr register */


	;; [unrolled: 1-line block ×3, first 2 shown]
/* not-LocalSplitU: global write indices */

/* computeStoreVgprs */
v_lshrrev_b32 v4, 6, v[vgprSerial]                 // v4 = v[vgprSerial] / 64
v_and_b32 v1, 63, v[vgprSerial]                    // v1 = v[vgprSerial] % 64
v_lshrrev_b32 v1, 5, v1                            // v1 = v1 / 32
v_lshlrev_b32 v1, 0x2, v1                          // thread0 * continuous_output
v_lshrrev_b32 v5, 0, v4                            // v5 = v4 / 1
v_mul_lo_u32 v5, 0x20, v5                          // wave coordination offset 1
_v_add_lshl_u32 v1, v5, v1, 0                      // coordination 1 = vwb *(wave_id1 + tid1)
v_mul_lo_u32 v2, v1, s[sgprStrideC1J]              //  offset 1
v_mul_lo_u32 v3, v1, s[sgprStrideD1J]              //  offset 1
v_and_b32 v5, 0, v4                                // v5 = v4 % 1
v_and_b32 v0, 31, v[vgprSerial]                    // v0 = v[vgprSerial] % 32
_v_add_lshl_u32 v0, v5, v0, 0                      // coordination 0 = vwa *(wave_id0 + tid0)
s_mul_i32 s34, 256, s[sgprWorkGroup0]              // wgp0 * MT0
_v_add_u32 v0, s34, v0                             // coord 0 = (tid0/MI_m)*4 + waveG0*MIB_m + MT0*SG0
s_mul_i32 s34, 256, s[sgprWorkGroup1]              // wgp1 * MT1
_v_add_u32 v1, s34, v1                             // coord 1 = (tid0%MI_m) + waveG1*MIB_n + MT1*SG1


/* not-LocalSplitU: global write */

s_cmpk_eq_u32 s[sgprBeta], 0x0                     // Beta == 0
s_cbranch_scc0 GW_Beta_43                          // Branch if Beta is not zero

s_and_b32 s52, 255, s[sgprSizeI]                   // s52 = s[sgprSizeI] % 256
s_add_u32 s53, -0x1, s[sgprNumWorkGroups0]         // 
s_cmp_ge_u32 s[sgprWorkGroup0], s53                // wg0 >= nwg0-1 ?
s_cselect_b32 s52, s52, 0                          // set rMT0
s_cmpk_gt_u32 s52, 0x0                             // rMT0 > 0
s_cbranch_scc1 GW_B0_E1_34                         // jump if edges required
s_and_b32 s52, 255, s[sgprSizeJ]                   // s52 = s[sgprSizeJ] % 256
s_add_u32 s53, -0x1, s[sgprNumWorkGroups1]         // 
s_cmp_ge_u32 s[sgprWorkGroup1], s53                // wg1 >= nwg1-1
s_cselect_b32 s52, s52, 0                          // set rMT1
s_cmpk_gt_u32 s52, 0x0                             // rMT1 > 0
s_cbranch_scc1 GW_B0_E1_34                         // jump if edges required
GW_B0_E0_31:

/* edge=0, allocate 2 sgpr. perBatchTmpS=2 perBatchMaskS=0 perElementMaskS=0 elementsPerBatch=240 */
/* optSingleColVgpr=1 optSharedColVgpr=0 optSGPRUsage=BufferLoad_Mask optSrdIncForRow=1 */
s_sleep 3 // optimization: sync and wait
s_barrier

/******************************************/
/* Global Write Alpha Batch #0 (d1,d0,vc1,vc0) = */
/*    (0,0,0,0:vw1); (0,1,0,0:vw1); (0,2,0,0:vw1); (0,3,0,0:vw1); (0,4,0,0:vw1); (0,5,0,0:vw1); (0,6,0,0:vw1); (0,7,0,0:vw1); (0,0,1,0:vw1); (0,1,1,0:vw1); (0,2,1,0:vw1); (0,3,1,0:vw1); (0,4,1,0:vw1); (0,5,1,0:vw1); (0,6,1,0:vw1); (0,7,1,0:vw1); (0,0,2,0:vw1); (0,1,2,0:vw1); (0,2,2,0:vw1); (0,3,2,0:vw1); (0,4,2,0:vw1); (0,5,2,0:vw1); (0,6,2,0:vw1); (0,7,2,0:vw1); (0,0,3,0:vw1); (0,1,3,0:vw1); (0,2,3,0:vw1); (0,3,3,0:vw1); (0,4,3,0:vw1); (0,5,3,0:vw1); (0,6,3,0:vw1); (0,7,3,0:vw1); (1,0,0,0:vw1); (1,1,0,0:vw1); (1,2,0,0:vw1); (1,3,0,0:vw1); (1,4,0,0:vw1); (1,5,0,0:vw1); (1,6,0,0:vw1); (1,7,0,0:vw1); (1,0,1,0:vw1); (1,1,1,0:vw1); (1,2,1,0:vw1); (1,3,1,0:vw1); (1,4,1,0:vw1); (1,5,1,0:vw1); (1,6,1,0:vw1); (1,7,1,0:vw1); (1,0,2,0:vw1); (1,1,2,0:vw1); (1,2,2,0:vw1); (1,3,2,0:vw1); (1,4,2,0:vw1); (1,5,2,0:vw1); (1,6,2,0:vw1); (1,7,2,0:vw1); (1,0,3,0:vw1); (1,1,3,0:vw1); (1,2,3,0:vw1); (1,3,3,0:vw1); (1,4,3,0:vw1); (1,5,3,0:vw1); (1,6,3,0:vw1); (1,7,3,0:vw1); (2,0,0,0:vw1); (2,1,0,0:vw1); (2,2,0,0:vw1); (2,3,0,0:vw1); (2,4,0,0:vw1); (2,5,0,0:vw1); (2,6,0,0:vw1); (2,7,0,0:vw1); (2,0,1,0:vw1); (2,1,1,0:vw1); (2,2,1,0:vw1); (2,3,1,0:vw1); (2,4,1,0:vw1); (2,5,1,0:vw1); (2,6,1,0:vw1); (2,7,1,0:vw1); (2,0,2,0:vw1); (2,1,2,0:vw1); (2,2,2,0:vw1); (2,3,2,0:vw1); (2,4,2,0:vw1); (2,5,2,0:vw1); (2,6,2,0:vw1); (2,7,2,0:vw1); (2,0,3,0:vw1); (2,1,3,0:vw1); (2,2,3,0:vw1); (2,3,3,0:vw1); (2,4,3,0:vw1); (2,5,3,0:vw1); (2,6,3,0:vw1); (2,7,3,0:vw1); (3,0,0,0:vw1); (3,1,0,0:vw1); (3,2,0,0:vw1); (3,3,0,0:vw1); (3,4,0,0:vw1); (3,5,0,0:vw1); (3,6,0,0:vw1); (3,7,0,0:vw1); (3,0,1,0:vw1); (3,1,1,0:vw1); (3,2,1,0:vw1); (3,3,1,0:vw1); (3,4,1,0:vw1); (3,5,1,0:vw1); (3,6,1,0:vw1); (3,7,1,0:vw1); (3,0,2,0:vw1); (3,1,2,0:vw1); (3,2,2,0:vw1); (3,3,2,0:vw1); (3,4,2,0:vw1); (3,5,2,0:vw1); (3,6,2,0:vw1); (3,7,2,0:vw1); (3,0,3,0:vw1); (3,1,3,0:vw1); (3,2,3,0:vw1); (3,3,3,0:vw1); (3,4,3,0:vw1); (3,5,3,0:vw1); (3,6,3,0:vw1); (3,7,3,0:vw1); (4,0,0,0:vw1); (4,1,0,0:vw1); (4,2,0,0:vw1); (4,3,0,0:vw1); (4,4,0,0:vw1); (4,5,0,0:vw1); (4,6,0,0:vw1); (4,7,0,0:vw1); (4,0,1,0:vw1); (4,1,1,0:vw1); (4,2,1,0:vw1); (4,3,1,0:vw1); (4,4,1,0:vw1); (4,5,1,0:vw1); (4,6,1,0:vw1); (4,7,1,0:vw1); (4,0,2,0:vw1); (4,1,2,0:vw1); (4,2,2,0:vw1); (4,3,2,0:vw1); (4,4,2,0:vw1); (4,5,2,0:vw1); (4,6,2,0:vw1); (4,7,2,0:vw1); (4,0,3,0:vw1); (4,1,3,0:vw1); (4,2,3,0:vw1); (4,3,3,0:vw1); (4,4,3,0:vw1); (4,5,3,0:vw1); (4,6,3,0:vw1); (4,7,3,0:vw1); (5,0,0,0:vw1); (5,1,0,0:vw1); (5,2,0,0:vw1); (5,3,0,0:vw1); (5,4,0,0:vw1); (5,5,0,0:vw1); (5,6,0,0:vw1); (5,7,0,0:vw1); (5,0,1,0:vw1); (5,1,1,0:vw1); (5,2,1,0:vw1); (5,3,1,0:vw1); (5,4,1,0:vw1); (5,5,1,0:vw1); (5,6,1,0:vw1); (5,7,1,0:vw1); (5,0,2,0:vw1); (5,1,2,0:vw1); (5,2,2,0:vw1); (5,3,2,0:vw1); (5,4,2,0:vw1); (5,5,2,0:vw1); (5,6,2,0:vw1); (5,7,2,0:vw1); (5,0,3,0:vw1); (5,1,3,0:vw1); (5,2,3,0:vw1); (5,3,3,0:vw1); (5,4,3,0:vw1); (5,5,3,0:vw1); (5,6,3,0:vw1); (5,7,3,0:vw1); (6,0,0,0:vw1); (6,1,0,0:vw1); (6,2,0,0:vw1); (6,3,0,0:vw1); (6,4,0,0:vw1); (6,5,0,0:vw1); (6,6,0,0:vw1); (6,7,0,0:vw1); (6,0,1,0:vw1); (6,1,1,0:vw1); (6,2,1,0:vw1); (6,3,1,0:vw1); (6,4,1,0:vw1); (6,5,1,0:vw1); (6,6,1,0:vw1); (6,7,1,0:vw1); (6,0,2,0:vw1); (6,1,2,0:vw1); (6,2,2,0:vw1); (6,3,2,0:vw1); (6,4,2,0:vw1); (6,5,2,0:vw1); (6,6,2,0:vw1); (6,7,2,0:vw1); (6,0,3,0:vw1); (6,1,3,0:vw1); (6,2,3,0:vw1); (6,3,3,0:vw1); (6,4,3,0:vw1); (6,5,3,0:vw1); (6,6,3,0:vw1); (6,7,3,0:vw1); (7,0,0,0:vw1); (7,1,0,0:vw1); (7,2,0,0:vw1); (7,3,0,0:vw1); (7,4,0,0:vw1); (7,5,0,0:vw1); (7,6,0,0:vw1); (7,7,0,0:vw1); (7,0,1,0:vw1); (7,1,1,0:vw1); (7,2,1,0:vw1); (7,3,1,0:vw1); (7,4,1,0:vw1); (7,5,1,0:vw1); (7,6,1,0:vw1); (7,7,1,0:vw1) */
/******************************************/

/* calc coords, apply mask, and issue loads (if necessary) */
/* (d1,vc1,d0,vc0)=(0,0,0,0) */
/* (d1,vc1,d0,vc0)=(0,0,1,0) */
	;; [unrolled: 1-line block ×240, first 2 shown]
_v_add_lshl_u32 v11, v3, v0, 0x0                   // optSingleColVgpr scaleToBpe: sharedAddrVgpr <- cinRowPtr + coord0, scaled by BPE. BSHERE:coord0=0, coord0Vgpr=0
v_accvgpr_read_b32 v[vgprValuC+13], acc0 // copy acc to vreg[0]
v_accvgpr_read_b32 v[vgprValuC+14], acc16 // copy acc to vreg[1]
v_accvgpr_read_b32 v[vgprValuC+15], acc32 // copy acc to vreg[2]
v_accvgpr_read_b32 v[vgprValuC+16], acc48 // copy acc to vreg[3]
v_accvgpr_read_b32 v[vgprValuC+17], acc64 // copy acc to vreg[4]
v_accvgpr_read_b32 v[vgprValuC+18], acc80 // copy acc to vreg[5]
v_accvgpr_read_b32 v[vgprValuC+19], acc96 // copy acc to vreg[6]
v_accvgpr_read_b32 v[vgprValuC+20], acc112 // copy acc to vreg[7]
v_accvgpr_read_b32 v[vgprValuC+21], acc1 // copy acc to vreg[8]
v_accvgpr_read_b32 v[vgprValuC+22], acc17 // copy acc to vreg[9]
v_accvgpr_read_b32 v[vgprValuC+23], acc33 // copy acc to vreg[10]
v_accvgpr_read_b32 v[vgprValuC+24], acc49 // copy acc to vreg[11]
v_accvgpr_read_b32 v[vgprValuC+25], acc65 // copy acc to vreg[12]
v_accvgpr_read_b32 v[vgprValuC+26], acc81 // copy acc to vreg[13]
v_accvgpr_read_b32 v[vgprValuC+27], acc97 // copy acc to vreg[14]
v_accvgpr_read_b32 v[vgprValuC+28], acc113 // copy acc to vreg[15]
v_accvgpr_read_b32 v[vgprValuC+29], acc2 // copy acc to vreg[16]
v_accvgpr_read_b32 v[vgprValuC+30], acc18 // copy acc to vreg[17]
v_accvgpr_read_b32 v[vgprValuC+31], acc34 // copy acc to vreg[18]
v_accvgpr_read_b32 v[vgprValuC+32], acc50 // copy acc to vreg[19]
v_accvgpr_read_b32 v[vgprValuC+33], acc66 // copy acc to vreg[20]
v_accvgpr_read_b32 v[vgprValuC+34], acc82 // copy acc to vreg[21]
v_accvgpr_read_b32 v[vgprValuC+35], acc98 // copy acc to vreg[22]
v_accvgpr_read_b32 v[vgprValuC+36], acc114 // copy acc to vreg[23]
v_accvgpr_read_b32 v[vgprValuC+37], acc3 // copy acc to vreg[24]
v_accvgpr_read_b32 v[vgprValuC+38], acc19 // copy acc to vreg[25]
v_accvgpr_read_b32 v[vgprValuC+39], acc35 // copy acc to vreg[26]
v_accvgpr_read_b32 v[vgprValuC+40], acc51 // copy acc to vreg[27]
v_accvgpr_read_b32 v[vgprValuC+41], acc67 // copy acc to vreg[28]
v_accvgpr_read_b32 v[vgprValuC+42], acc83 // copy acc to vreg[29]
v_accvgpr_read_b32 v[vgprValuC+43], acc99 // copy acc to vreg[30]
v_accvgpr_read_b32 v[vgprValuC+44], acc115 // copy acc to vreg[31]
v_accvgpr_read_b32 v[vgprValuC+45], acc4 // copy acc to vreg[32]
v_accvgpr_read_b32 v[vgprValuC+46], acc20 // copy acc to vreg[33]
v_accvgpr_read_b32 v[vgprValuC+47], acc36 // copy acc to vreg[34]
v_accvgpr_read_b32 v[vgprValuC+48], acc52 // copy acc to vreg[35]
v_accvgpr_read_b32 v[vgprValuC+49], acc68 // copy acc to vreg[36]
v_accvgpr_read_b32 v[vgprValuC+50], acc84 // copy acc to vreg[37]
v_accvgpr_read_b32 v[vgprValuC+51], acc100 // copy acc to vreg[38]
v_accvgpr_read_b32 v[vgprValuC+52], acc116 // copy acc to vreg[39]
v_accvgpr_read_b32 v[vgprValuC+53], acc5 // copy acc to vreg[40]
v_accvgpr_read_b32 v[vgprValuC+54], acc21 // copy acc to vreg[41]
v_accvgpr_read_b32 v[vgprValuC+55], acc37 // copy acc to vreg[42]
v_accvgpr_read_b32 v[vgprValuC+56], acc53 // copy acc to vreg[43]
v_accvgpr_read_b32 v[vgprValuC+57], acc69 // copy acc to vreg[44]
v_accvgpr_read_b32 v[vgprValuC+58], acc85 // copy acc to vreg[45]
v_accvgpr_read_b32 v[vgprValuC+59], acc101 // copy acc to vreg[46]
v_accvgpr_read_b32 v[vgprValuC+60], acc117 // copy acc to vreg[47]
v_accvgpr_read_b32 v[vgprValuC+61], acc6 // copy acc to vreg[48]
v_accvgpr_read_b32 v[vgprValuC+62], acc22 // copy acc to vreg[49]
v_accvgpr_read_b32 v[vgprValuC+63], acc38 // copy acc to vreg[50]
v_accvgpr_read_b32 v[vgprValuC+64], acc54 // copy acc to vreg[51]
v_accvgpr_read_b32 v[vgprValuC+65], acc70 // copy acc to vreg[52]
v_accvgpr_read_b32 v[vgprValuC+66], acc86 // copy acc to vreg[53]
v_accvgpr_read_b32 v[vgprValuC+67], acc102 // copy acc to vreg[54]
v_accvgpr_read_b32 v[vgprValuC+68], acc118 // copy acc to vreg[55]
v_accvgpr_read_b32 v[vgprValuC+69], acc7 // copy acc to vreg[56]
v_accvgpr_read_b32 v[vgprValuC+70], acc23 // copy acc to vreg[57]
v_accvgpr_read_b32 v[vgprValuC+71], acc39 // copy acc to vreg[58]
v_accvgpr_read_b32 v[vgprValuC+72], acc55 // copy acc to vreg[59]
v_accvgpr_read_b32 v[vgprValuC+73], acc71 // copy acc to vreg[60]
v_accvgpr_read_b32 v[vgprValuC+74], acc87 // copy acc to vreg[61]
v_accvgpr_read_b32 v[vgprValuC+75], acc103 // copy acc to vreg[62]
v_accvgpr_read_b32 v[vgprValuC+76], acc119 // copy acc to vreg[63]
v_accvgpr_read_b32 v[vgprValuC+77], acc8 // copy acc to vreg[64]
v_accvgpr_read_b32 v[vgprValuC+78], acc24 // copy acc to vreg[65]
v_accvgpr_read_b32 v[vgprValuC+79], acc40 // copy acc to vreg[66]
v_accvgpr_read_b32 v[vgprValuC+80], acc56 // copy acc to vreg[67]
v_accvgpr_read_b32 v[vgprValuC+81], acc72 // copy acc to vreg[68]
v_accvgpr_read_b32 v[vgprValuC+82], acc88 // copy acc to vreg[69]
v_accvgpr_read_b32 v[vgprValuC+83], acc104 // copy acc to vreg[70]
v_accvgpr_read_b32 v[vgprValuC+84], acc120 // copy acc to vreg[71]
v_accvgpr_read_b32 v[vgprValuC+85], acc9 // copy acc to vreg[72]
v_accvgpr_read_b32 v[vgprValuC+86], acc25 // copy acc to vreg[73]
v_accvgpr_read_b32 v[vgprValuC+87], acc41 // copy acc to vreg[74]
v_accvgpr_read_b32 v[vgprValuC+88], acc57 // copy acc to vreg[75]
v_accvgpr_read_b32 v[vgprValuC+89], acc73 // copy acc to vreg[76]
v_accvgpr_read_b32 v[vgprValuC+90], acc89 // copy acc to vreg[77]
v_accvgpr_read_b32 v[vgprValuC+91], acc105 // copy acc to vreg[78]
v_accvgpr_read_b32 v[vgprValuC+92], acc121 // copy acc to vreg[79]
v_accvgpr_read_b32 v[vgprValuC+93], acc10 // copy acc to vreg[80]
v_accvgpr_read_b32 v[vgprValuC+94], acc26 // copy acc to vreg[81]
v_accvgpr_read_b32 v[vgprValuC+95], acc42 // copy acc to vreg[82]
v_accvgpr_read_b32 v[vgprValuC+96], acc58 // copy acc to vreg[83]
v_accvgpr_read_b32 v[vgprValuC+97], acc74 // copy acc to vreg[84]
v_accvgpr_read_b32 v[vgprValuC+98], acc90 // copy acc to vreg[85]
v_accvgpr_read_b32 v[vgprValuC+99], acc106 // copy acc to vreg[86]
v_accvgpr_read_b32 v[vgprValuC+100], acc122 // copy acc to vreg[87]
v_accvgpr_read_b32 v[vgprValuC+101], acc11 // copy acc to vreg[88]
v_accvgpr_read_b32 v[vgprValuC+102], acc27 // copy acc to vreg[89]
v_accvgpr_read_b32 v[vgprValuC+103], acc43 // copy acc to vreg[90]
v_accvgpr_read_b32 v[vgprValuC+104], acc59 // copy acc to vreg[91]
v_accvgpr_read_b32 v[vgprValuC+105], acc75 // copy acc to vreg[92]
v_accvgpr_read_b32 v[vgprValuC+106], acc91 // copy acc to vreg[93]
v_accvgpr_read_b32 v[vgprValuC+107], acc107 // copy acc to vreg[94]
v_accvgpr_read_b32 v[vgprValuC+108], acc123 // copy acc to vreg[95]
v_accvgpr_read_b32 v[vgprValuC+109], acc12 // copy acc to vreg[96]
v_accvgpr_read_b32 v[vgprValuC+110], acc28 // copy acc to vreg[97]
v_accvgpr_read_b32 v[vgprValuC+111], acc44 // copy acc to vreg[98]
v_accvgpr_read_b32 v[vgprValuC+112], acc60 // copy acc to vreg[99]
v_accvgpr_read_b32 v[vgprValuC+113], acc76 // copy acc to vreg[100]
v_accvgpr_read_b32 v[vgprValuC+114], acc92 // copy acc to vreg[101]
v_accvgpr_read_b32 v[vgprValuC+115], acc108 // copy acc to vreg[102]
v_accvgpr_read_b32 v[vgprValuC+119], acc124 // copy acc to vreg[103]
v_accvgpr_read_b32 v[vgprValuC+120], acc13 // copy acc to vreg[104]
v_accvgpr_read_b32 v[vgprValuC+121], acc29 // copy acc to vreg[105]
v_accvgpr_read_b32 v[vgprValuC+122], acc45 // copy acc to vreg[106]
v_accvgpr_read_b32 v[vgprValuC+123], acc61 // copy acc to vreg[107]
v_accvgpr_read_b32 v[vgprValuC+124], acc77 // copy acc to vreg[108]
v_accvgpr_read_b32 v[vgprValuC+125], acc93 // copy acc to vreg[109]
v_accvgpr_read_b32 v[vgprValuC+126], acc109 // copy acc to vreg[110]
v_accvgpr_read_b32 v[vgprValuC+127], acc125 // copy acc to vreg[111]
v_accvgpr_read_b32 v[vgprValuC+128], acc14 // copy acc to vreg[112]
v_accvgpr_read_b32 v[vgprValuC+129], acc30 // copy acc to vreg[113]
v_accvgpr_read_b32 v[vgprValuC+130], acc46 // copy acc to vreg[114]
v_accvgpr_read_b32 v[vgprValuC+131], acc62 // copy acc to vreg[115]
v_accvgpr_read_b32 v[vgprValuC+132], acc78 // copy acc to vreg[116]
v_accvgpr_read_b32 v[vgprValuC+133], acc94 // copy acc to vreg[117]
v_accvgpr_read_b32 v[vgprValuC+134], acc110 // copy acc to vreg[118]
v_accvgpr_read_b32 v[vgprValuC+135], acc126 // copy acc to vreg[119]
v_accvgpr_read_b32 v[vgprValuC+136], acc15 // copy acc to vreg[120]
v_accvgpr_read_b32 v[vgprValuC+137], acc31 // copy acc to vreg[121]
v_accvgpr_read_b32 v[vgprValuC+138], acc47 // copy acc to vreg[122]
v_accvgpr_read_b32 v[vgprValuC+139], acc63 // copy acc to vreg[123]
v_accvgpr_read_b32 v[vgprValuC+140], acc79 // copy acc to vreg[124]
v_accvgpr_read_b32 v[vgprValuC+141], acc95 // copy acc to vreg[125]
v_accvgpr_read_b32 v[vgprValuC+142], acc111 // copy acc to vreg[126]
v_accvgpr_read_b32 v[vgprValuC+143], acc127 // copy acc to vreg[127]
v_accvgpr_read_b32 v[vgprValuC+144], acc128 // copy acc to vreg[128]
v_accvgpr_read_b32 v[vgprValuC+145], acc144 // copy acc to vreg[129]
v_accvgpr_read_b32 v[vgprValuC+146], acc160 // copy acc to vreg[130]
v_accvgpr_read_b32 v[vgprValuC+147], acc176 // copy acc to vreg[131]
v_accvgpr_read_b32 v[vgprValuC+148], acc192 // copy acc to vreg[132]
v_accvgpr_read_b32 v[vgprValuC+149], acc208 // copy acc to vreg[133]
v_accvgpr_read_b32 v[vgprValuC+150], acc224 // copy acc to vreg[134]
v_accvgpr_read_b32 v[vgprValuC+151], acc240 // copy acc to vreg[135]
v_accvgpr_read_b32 v[vgprValuC+152], acc129 // copy acc to vreg[136]
v_accvgpr_read_b32 v[vgprValuC+153], acc145 // copy acc to vreg[137]
v_accvgpr_read_b32 v[vgprValuC+154], acc161 // copy acc to vreg[138]
v_accvgpr_read_b32 v[vgprValuC+155], acc177 // copy acc to vreg[139]
v_accvgpr_read_b32 v[vgprValuC+156], acc193 // copy acc to vreg[140]
v_accvgpr_read_b32 v[vgprValuC+157], acc209 // copy acc to vreg[141]
v_accvgpr_read_b32 v[vgprValuC+158], acc225 // copy acc to vreg[142]
v_accvgpr_read_b32 v[vgprValuC+159], acc241 // copy acc to vreg[143]
v_accvgpr_read_b32 v[vgprValuC+160], acc130 // copy acc to vreg[144]
v_accvgpr_read_b32 v[vgprValuC+161], acc146 // copy acc to vreg[145]
v_accvgpr_read_b32 v[vgprValuC+162], acc162 // copy acc to vreg[146]
v_accvgpr_read_b32 v[vgprValuC+163], acc178 // copy acc to vreg[147]
v_accvgpr_read_b32 v[vgprValuC+164], acc194 // copy acc to vreg[148]
v_accvgpr_read_b32 v[vgprValuC+165], acc210 // copy acc to vreg[149]
v_accvgpr_read_b32 v[vgprValuC+166], acc226 // copy acc to vreg[150]
v_accvgpr_read_b32 v[vgprValuC+167], acc242 // copy acc to vreg[151]
v_accvgpr_read_b32 v[vgprValuC+168], acc131 // copy acc to vreg[152]
v_accvgpr_read_b32 v[vgprValuC+169], acc147 // copy acc to vreg[153]
v_accvgpr_read_b32 v[vgprValuC+170], acc163 // copy acc to vreg[154]
v_accvgpr_read_b32 v[vgprValuC+171], acc179 // copy acc to vreg[155]
v_accvgpr_read_b32 v[vgprValuC+172], acc195 // copy acc to vreg[156]
v_accvgpr_read_b32 v[vgprValuC+173], acc211 // copy acc to vreg[157]
v_accvgpr_read_b32 v[vgprValuC+174], acc227 // copy acc to vreg[158]
v_accvgpr_read_b32 v[vgprValuC+175], acc243 // copy acc to vreg[159]
v_accvgpr_read_b32 v[vgprValuC+176], acc132 // copy acc to vreg[160]
v_accvgpr_read_b32 v[vgprValuC+177], acc148 // copy acc to vreg[161]
v_accvgpr_read_b32 v[vgprValuC+178], acc164 // copy acc to vreg[162]
v_accvgpr_read_b32 v[vgprValuC+179], acc180 // copy acc to vreg[163]
v_accvgpr_read_b32 v[vgprValuC+180], acc196 // copy acc to vreg[164]
v_accvgpr_read_b32 v[vgprValuC+181], acc212 // copy acc to vreg[165]
v_accvgpr_read_b32 v[vgprValuC+182], acc228 // copy acc to vreg[166]
v_accvgpr_read_b32 v[vgprValuC+183], acc244 // copy acc to vreg[167]
v_accvgpr_read_b32 v[vgprValuC+184], acc133 // copy acc to vreg[168]
v_accvgpr_read_b32 v[vgprValuC+185], acc149 // copy acc to vreg[169]
v_accvgpr_read_b32 v[vgprValuC+186], acc165 // copy acc to vreg[170]
v_accvgpr_read_b32 v[vgprValuC+187], acc181 // copy acc to vreg[171]
v_accvgpr_read_b32 v[vgprValuC+188], acc197 // copy acc to vreg[172]
v_accvgpr_read_b32 v[vgprValuC+189], acc213 // copy acc to vreg[173]
v_accvgpr_read_b32 v[vgprValuC+190], acc229 // copy acc to vreg[174]
v_accvgpr_read_b32 v[vgprValuC+191], acc245 // copy acc to vreg[175]
v_accvgpr_read_b32 v[vgprValuC+192], acc134 // copy acc to vreg[176]
v_accvgpr_read_b32 v[vgprValuC+193], acc150 // copy acc to vreg[177]
v_accvgpr_read_b32 v[vgprValuC+194], acc166 // copy acc to vreg[178]
v_accvgpr_read_b32 v[vgprValuC+195], acc182 // copy acc to vreg[179]
v_accvgpr_read_b32 v[vgprValuC+196], acc198 // copy acc to vreg[180]
v_accvgpr_read_b32 v[vgprValuC+197], acc214 // copy acc to vreg[181]
v_accvgpr_read_b32 v[vgprValuC+198], acc230 // copy acc to vreg[182]
v_accvgpr_read_b32 v[vgprValuC+199], acc246 // copy acc to vreg[183]
v_accvgpr_read_b32 v[vgprValuC+200], acc135 // copy acc to vreg[184]
v_accvgpr_read_b32 v[vgprValuC+201], acc151 // copy acc to vreg[185]
v_accvgpr_read_b32 v[vgprValuC+202], acc167 // copy acc to vreg[186]
v_accvgpr_read_b32 v[vgprValuC+203], acc183 // copy acc to vreg[187]
v_accvgpr_read_b32 v[vgprValuC+204], acc199 // copy acc to vreg[188]
v_accvgpr_read_b32 v[vgprValuC+205], acc215 // copy acc to vreg[189]
v_accvgpr_read_b32 v[vgprValuC+206], acc231 // copy acc to vreg[190]
v_accvgpr_read_b32 v[vgprValuC+207], acc247 // copy acc to vreg[191]
v_accvgpr_read_b32 v[vgprValuC+208], acc136 // copy acc to vreg[192]
v_accvgpr_read_b32 v[vgprValuC+209], acc152 // copy acc to vreg[193]
v_accvgpr_read_b32 v[vgprValuC+210], acc168 // copy acc to vreg[194]
v_accvgpr_read_b32 v[vgprValuC+211], acc184 // copy acc to vreg[195]
v_accvgpr_read_b32 v[vgprValuC+212], acc200 // copy acc to vreg[196]
v_accvgpr_read_b32 v[vgprValuC+213], acc216 // copy acc to vreg[197]
v_accvgpr_read_b32 v[vgprValuC+214], acc232 // copy acc to vreg[198]
v_accvgpr_read_b32 v[vgprValuC+215], acc248 // copy acc to vreg[199]
v_accvgpr_read_b32 v[vgprValuC+216], acc137 // copy acc to vreg[200]
v_accvgpr_read_b32 v[vgprValuC+217], acc153 // copy acc to vreg[201]
v_accvgpr_read_b32 v[vgprValuC+218], acc169 // copy acc to vreg[202]
v_accvgpr_read_b32 v[vgprValuC+219], acc185 // copy acc to vreg[203]
v_accvgpr_read_b32 v[vgprValuC+220], acc201 // copy acc to vreg[204]
v_accvgpr_read_b32 v[vgprValuC+221], acc217 // copy acc to vreg[205]
v_accvgpr_read_b32 v[vgprValuC+222], acc233 // copy acc to vreg[206]
v_accvgpr_read_b32 v[vgprValuC+223], acc249 // copy acc to vreg[207]
v_accvgpr_read_b32 v[vgprValuC+224], acc138 // copy acc to vreg[208]
v_accvgpr_read_b32 v[vgprValuC+225], acc154 // copy acc to vreg[209]
v_accvgpr_read_b32 v[vgprValuC+226], acc170 // copy acc to vreg[210]
v_accvgpr_read_b32 v[vgprValuC+227], acc186 // copy acc to vreg[211]
v_accvgpr_read_b32 v[vgprValuC+228], acc202 // copy acc to vreg[212]
v_accvgpr_read_b32 v[vgprValuC+229], acc218 // copy acc to vreg[213]
v_accvgpr_read_b32 v[vgprValuC+230], acc234 // copy acc to vreg[214]
v_accvgpr_read_b32 v[vgprValuC+231], acc250 // copy acc to vreg[215]
v_accvgpr_read_b32 v[vgprValuC+232], acc139 // copy acc to vreg[216]
v_accvgpr_read_b32 v[vgprValuC+233], acc155 // copy acc to vreg[217]
v_accvgpr_read_b32 v[vgprValuC+234], acc171 // copy acc to vreg[218]
v_accvgpr_read_b32 v[vgprValuC+235], acc187 // copy acc to vreg[219]
v_accvgpr_read_b32 v[vgprValuC+236], acc203 // copy acc to vreg[220]
v_accvgpr_read_b32 v[vgprValuC+237], acc219 // copy acc to vreg[221]
v_accvgpr_read_b32 v[vgprValuC+238], acc235 // copy acc to vreg[222]
v_accvgpr_read_b32 v[vgprValuC+239], acc251 // copy acc to vreg[223]
v_accvgpr_read_b32 v[vgprValuC+240], acc140 // copy acc to vreg[224]
v_accvgpr_read_b32 v[vgprValuC+241], acc156 // copy acc to vreg[225]
v_accvgpr_read_b32 v[vgprValuC+242], acc172 // copy acc to vreg[226]
v_accvgpr_read_b32 v[vgprValuC+243], acc188 // copy acc to vreg[227]
v_accvgpr_read_b32 v[vgprValuC+244], acc204 // copy acc to vreg[228]
v_accvgpr_read_b32 v[vgprValuC+245], acc220 // copy acc to vreg[229]
v_accvgpr_read_b32 v[vgprValuC+246], acc236 // copy acc to vreg[230]
v_accvgpr_read_b32 v[vgprValuC+247], acc252 // copy acc to vreg[231]
v_accvgpr_read_b32 v[vgprValuC+248], acc141 // copy acc to vreg[232]
v_accvgpr_read_b32 v[vgprValuC+249], acc157 // copy acc to vreg[233]
v_accvgpr_read_b32 v[vgprValuC+250], acc173 // copy acc to vreg[234]
v_accvgpr_read_b32 v[vgprValuC+251], acc189 // copy acc to vreg[235]
v_accvgpr_read_b32 v[vgprValuC+252], acc205 // copy acc to vreg[236]
v_accvgpr_read_b32 v[vgprValuC+253], acc221 // copy acc to vreg[237]
v_accvgpr_read_b32 v[vgprValuC+254], acc237 // copy acc to vreg[238]
v_accvgpr_read_b32 v[vgprValuC+255], acc253 // copy acc to vreg[239]
s_nop 1                                            // 2 wait states required before reading vgpr

/* rC *= alpha batchElements=[(0, 0, 0, 0), (0, 1, 0, 0), (0, 2, 0, 0), (0, 3, 0, 0), (0, 4, 0, 0), (0, 5, 0, 0), (0, 6, 0, 0), (0, 7, 0, 0), (0, 0, 1, 0), (0, 1, 1, 0), (0, 2, 1, 0), (0, 3, 1, 0), (0, 4, 1, 0), (0, 5, 1, 0), (0, 6, 1, 0), (0, 7, 1, 0), (0, 0, 2, 0), (0, 1, 2, 0), (0, 2, 2, 0), (0, 3, 2, 0), (0, 4, 2, 0), (0, 5, 2, 0), (0, 6, 2, 0), (0, 7, 2, 0), (0, 0, 3, 0), (0, 1, 3, 0), (0, 2, 3, 0), (0, 3, 3, 0), (0, 4, 3, 0), (0, 5, 3, 0), (0, 6, 3, 0), (0, 7, 3, 0), (1, 0, 0, 0), (1, 1, 0, 0), (1, 2, 0, 0), (1, 3, 0, 0), (1, 4, 0, 0), (1, 5, 0, 0), (1, 6, 0, 0), (1, 7, 0, 0), (1, 0, 1, 0), (1, 1, 1, 0), (1, 2, 1, 0), (1, 3, 1, 0), (1, 4, 1, 0), (1, 5, 1, 0), (1, 6, 1, 0), (1, 7, 1, 0), (1, 0, 2, 0), (1, 1, 2, 0), (1, 2, 2, 0), (1, 3, 2, 0), (1, 4, 2, 0), (1, 5, 2, 0), (1, 6, 2, 0), (1, 7, 2, 0), (1, 0, 3, 0), (1, 1, 3, 0), (1, 2, 3, 0), (1, 3, 3, 0), (1, 4, 3, 0), (1, 5, 3, 0), (1, 6, 3, 0), (1, 7, 3, 0), (2, 0, 0, 0), (2, 1, 0, 0), (2, 2, 0, 0), (2, 3, 0, 0), (2, 4, 0, 0), (2, 5, 0, 0), (2, 6, 0, 0), (2, 7, 0, 0), (2, 0, 1, 0), (2, 1, 1, 0), (2, 2, 1, 0), (2, 3, 1, 0), (2, 4, 1, 0), (2, 5, 1, 0), (2, 6, 1, 0), (2, 7, 1, 0), (2, 0, 2, 0), (2, 1, 2, 0), (2, 2, 2, 0), (2, 3, 2, 0), (2, 4, 2, 0), (2, 5, 2, 0), (2, 6, 2, 0), (2, 7, 2, 0), (2, 0, 3, 0), (2, 1, 3, 0), (2, 2, 3, 0), (2, 3, 3, 0), (2, 4, 3, 0), (2, 5, 3, 0), (2, 6, 3, 0), (2, 7, 3, 0), (3, 0, 0, 0), (3, 1, 0, 0), (3, 2, 0, 0), (3, 3, 0, 0), (3, 4, 0, 0), (3, 5, 0, 0), (3, 6, 0, 0), (3, 7, 0, 0), (3, 0, 1, 0), (3, 1, 1, 0), (3, 2, 1, 0), (3, 3, 1, 0), (3, 4, 1, 0), (3, 5, 1, 0), (3, 6, 1, 0), (3, 7, 1, 0), (3, 0, 2, 0), (3, 1, 2, 0), (3, 2, 2, 0), (3, 3, 2, 0), (3, 4, 2, 0), (3, 5, 2, 0), (3, 6, 2, 0), (3, 7, 2, 0), (3, 0, 3, 0), (3, 1, 3, 0), (3, 2, 3, 0), (3, 3, 3, 0), (3, 4, 3, 0), (3, 5, 3, 0), (3, 6, 3, 0), (3, 7, 3, 0), (4, 0, 0, 0), (4, 1, 0, 0), (4, 2, 0, 0), (4, 3, 0, 0), (4, 4, 0, 0), (4, 5, 0, 0), (4, 6, 0, 0), (4, 7, 0, 0), (4, 0, 1, 0), (4, 1, 1, 0), (4, 2, 1, 0), (4, 3, 1, 0), (4, 4, 1, 0), (4, 5, 1, 0), (4, 6, 1, 0), (4, 7, 1, 0), (4, 0, 2, 0), (4, 1, 2, 0), (4, 2, 2, 0), (4, 3, 2, 0), (4, 4, 2, 0), (4, 5, 2, 0), (4, 6, 2, 0), (4, 7, 2, 0), (4, 0, 3, 0), (4, 1, 3, 0), (4, 2, 3, 0), (4, 3, 3, 0), (4, 4, 3, 0), (4, 5, 3, 0), (4, 6, 3, 0), (4, 7, 3, 0), (5, 0, 0, 0), (5, 1, 0, 0), (5, 2, 0, 0), (5, 3, 0, 0), (5, 4, 0, 0), (5, 5, 0, 0), (5, 6, 0, 0), (5, 7, 0, 0), (5, 0, 1, 0), (5, 1, 1, 0), (5, 2, 1, 0), (5, 3, 1, 0), (5, 4, 1, 0), (5, 5, 1, 0), (5, 6, 1, 0), (5, 7, 1, 0), (5, 0, 2, 0), (5, 1, 2, 0), (5, 2, 2, 0), (5, 3, 2, 0), (5, 4, 2, 0), (5, 5, 2, 0), (5, 6, 2, 0), (5, 7, 2, 0), (5, 0, 3, 0), (5, 1, 3, 0), (5, 2, 3, 0), (5, 3, 3, 0), (5, 4, 3, 0), (5, 5, 3, 0), (5, 6, 3, 0), (5, 7, 3, 0), (6, 0, 0, 0), (6, 1, 0, 0), (6, 2, 0, 0), (6, 3, 0, 0), (6, 4, 0, 0), (6, 5, 0, 0), (6, 6, 0, 0), (6, 7, 0, 0), (6, 0, 1, 0), (6, 1, 1, 0), (6, 2, 1, 0), (6, 3, 1, 0), (6, 4, 1, 0), (6, 5, 1, 0), (6, 6, 1, 0), (6, 7, 1, 0), (6, 0, 2, 0), (6, 1, 2, 0), (6, 2, 2, 0), (6, 3, 2, 0), (6, 4, 2, 0), (6, 5, 2, 0), (6, 6, 2, 0), (6, 7, 2, 0), (6, 0, 3, 0), (6, 1, 3, 0), (6, 2, 3, 0), (6, 3, 3, 0), (6, 4, 3, 0), (6, 5, 3, 0), (6, 6, 3, 0), (6, 7, 3, 0), (7, 0, 0, 0), (7, 1, 0, 0), (7, 2, 0, 0), (7, 3, 0, 0), (7, 4, 0, 0), (7, 5, 0, 0), (7, 6, 0, 0), (7, 7, 0, 0), (7, 0, 1, 0), (7, 1, 1, 0), (7, 2, 1, 0), (7, 3, 1, 0), (7, 4, 1, 0), (7, 5, 1, 0), (7, 6, 1, 0), (7, 7, 1, 0)] */
v_mul_f32 v[vgprValuC+13], s[sgprAlpha], v[vgprValuC+13] // *= alpha
v_mul_f32 v[vgprValuC+14], s[sgprAlpha], v[vgprValuC+14] // *= alpha
	;; [unrolled: 1-line block ×240, first 2 shown]

/* apply mask, calc new C and issue writes */
v_mov_b32 v10, 0x207                               // flag for Nan and +/- inf
v_mov_b32 v8, 0x47600000                           // save 57344.0f as max for clipping
v_mov_b32 v9, 0xC7600000                           // save -57344`.0f as min for clipping
v_cmp_class_f32 s[34:35], v[vgprValuC+13], v10     // check NaN and +/-INF
v_med3_f32 v6, v[vgprValuC+13], v8, v9             // Clipping f32 value if exceeds the limit
v_cndmask_b32 v6, v6, v[vgprValuC+13], s[34:35]    // 
v_cvt_pk_bf8_f32  v13, v6, v6                      // convert f32 accumulated values to fp8
buffer_store_byte v13, v11, s[sgprSrdD:sgprSrdD+3], 0, offen, offset:0,  sc0 sc1 // store D
v_cmp_class_f32 s[34:35], v[vgprValuC+14], v10     // check NaN and +/-INF
v_med3_f32 v6, v[vgprValuC+14], v8, v9             // Clipping f32 value if exceeds the limit
v_cndmask_b32 v6, v6, v[vgprValuC+14], s[34:35]    // 
v_cvt_pk_bf8_f32  v14, v6, v6                      // convert f32 accumulated values to fp8
buffer_store_byte v14, v11, s[sgprSrdD:sgprSrdD+3], 0, offen, offset:32,  sc0 sc1 // store D
	;; [unrolled: 5-line block ×8, first 2 shown]
v_cmp_class_f32 s[34:35], v[vgprValuC+21], v10     // check NaN and +/-INF
v_med3_f32 v6, v[vgprValuC+21], v8, v9             // Clipping f32 value if exceeds the limit
v_cndmask_b32 v6, v6, v[vgprValuC+21], s[34:35]    // 
v_cvt_pk_bf8_f32  v21, v6, v6                      // convert f32 accumulated values to fp8
s_lshl_b32  s34, s[sgprStrideD1J], 0               // incToNextRow: Scale by BPE
s_add_u32  s[sgprSrdD+0], s[sgprSrdD+0], s34       // incToNextRow: gra SRD += inc(lower)
s_addc_u32  s[sgprSrdD+1], s[sgprSrdD+1], 0        // incToNextRow: gra SRD += inc(upper)
buffer_store_byte v21, v11, s[sgprSrdD:sgprSrdD+3], 0, offen, offset:0,  sc0 sc1 // store D
v_cmp_class_f32 s[34:35], v[vgprValuC+22], v10     // check NaN and +/-INF
v_med3_f32 v6, v[vgprValuC+22], v8, v9             // Clipping f32 value if exceeds the limit
v_cndmask_b32 v6, v6, v[vgprValuC+22], s[34:35]    // 
v_cvt_pk_bf8_f32  v22, v6, v6                      // convert f32 accumulated values to fp8
buffer_store_byte v22, v11, s[sgprSrdD:sgprSrdD+3], 0, offen, offset:32,  sc0 sc1 // store D
v_cmp_class_f32 s[34:35], v[vgprValuC+23], v10     // check NaN and +/-INF
v_med3_f32 v6, v[vgprValuC+23], v8, v9             // Clipping f32 value if exceeds the limit
v_cndmask_b32 v6, v6, v[vgprValuC+23], s[34:35]    // 
v_cvt_pk_bf8_f32  v23, v6, v6                      // convert f32 accumulated values to fp8
buffer_store_byte v23, v11, s[sgprSrdD:sgprSrdD+3], 0, offen, offset:64,  sc0 sc1 // store D
v_cmp_class_f32 s[34:35], v[vgprValuC+24], v10     // check NaN and +/-INF
v_med3_f32 v6, v[vgprValuC+24], v8, v9             // Clipping f32 value if exceeds the limit
v_cndmask_b32 v6, v6, v[vgprValuC+24], s[34:35]    // 
v_cvt_pk_bf8_f32  v24, v6, v6                      // convert f32 accumulated values to fp8
buffer_store_byte v24, v11, s[sgprSrdD:sgprSrdD+3], 0, offen, offset:96,  sc0 sc1 // store D
v_cmp_class_f32 s[34:35], v[vgprValuC+25], v10     // check NaN and +/-INF
v_med3_f32 v6, v[vgprValuC+25], v8, v9             // Clipping f32 value if exceeds the limit
v_cndmask_b32 v6, v6, v[vgprValuC+25], s[34:35]    // 
v_cvt_pk_bf8_f32  v25, v6, v6                      // convert f32 accumulated values to fp8
buffer_store_byte v25, v11, s[sgprSrdD:sgprSrdD+3], 0, offen, offset:128,  sc0 sc1 // store D
v_cmp_class_f32 s[34:35], v[vgprValuC+26], v10     // check NaN and +/-INF
v_med3_f32 v6, v[vgprValuC+26], v8, v9             // Clipping f32 value if exceeds the limit
v_cndmask_b32 v6, v6, v[vgprValuC+26], s[34:35]    // 
v_cvt_pk_bf8_f32  v26, v6, v6                      // convert f32 accumulated values to fp8
buffer_store_byte v26, v11, s[sgprSrdD:sgprSrdD+3], 0, offen, offset:160,  sc0 sc1 // store D
v_cmp_class_f32 s[34:35], v[vgprValuC+27], v10     // check NaN and +/-INF
v_med3_f32 v6, v[vgprValuC+27], v8, v9             // Clipping f32 value if exceeds the limit
v_cndmask_b32 v6, v6, v[vgprValuC+27], s[34:35]    // 
v_cvt_pk_bf8_f32  v27, v6, v6                      // convert f32 accumulated values to fp8
buffer_store_byte v27, v11, s[sgprSrdD:sgprSrdD+3], 0, offen, offset:192,  sc0 sc1 // store D
v_cmp_class_f32 s[34:35], v[vgprValuC+28], v10     // check NaN and +/-INF
v_med3_f32 v6, v[vgprValuC+28], v8, v9             // Clipping f32 value if exceeds the limit
v_cndmask_b32 v6, v6, v[vgprValuC+28], s[34:35]    // 
v_cvt_pk_bf8_f32  v28, v6, v6                      // convert f32 accumulated values to fp8
buffer_store_byte v28, v11, s[sgprSrdD:sgprSrdD+3], 0, offen, offset:224,  sc0 sc1 // store D
v_cmp_class_f32 s[34:35], v[vgprValuC+29], v10     // check NaN and +/-INF
v_med3_f32 v6, v[vgprValuC+29], v8, v9             // Clipping f32 value if exceeds the limit
v_cndmask_b32 v6, v6, v[vgprValuC+29], s[34:35]    // 
v_cvt_pk_bf8_f32  v29, v6, v6                      // convert f32 accumulated values to fp8
s_lshl_b32  s34, s[sgprStrideD1J], 0               // incToNextRow: Scale by BPE
s_add_u32  s[sgprSrdD+0], s[sgprSrdD+0], s34       // incToNextRow: gra SRD += inc(lower)
s_addc_u32  s[sgprSrdD+1], s[sgprSrdD+1], 0        // incToNextRow: gra SRD += inc(upper)
buffer_store_byte v29, v11, s[sgprSrdD:sgprSrdD+3], 0, offen, offset:0,  sc0 sc1 // store D
v_cmp_class_f32 s[34:35], v[vgprValuC+30], v10     // check NaN and +/-INF
v_med3_f32 v6, v[vgprValuC+30], v8, v9             // Clipping f32 value if exceeds the limit
v_cndmask_b32 v6, v6, v[vgprValuC+30], s[34:35]    // 
v_cvt_pk_bf8_f32  v30, v6, v6                      // convert f32 accumulated values to fp8
buffer_store_byte v30, v11, s[sgprSrdD:sgprSrdD+3], 0, offen, offset:32,  sc0 sc1 // store D
v_cmp_class_f32 s[34:35], v[vgprValuC+31], v10     // check NaN and +/-INF
v_med3_f32 v6, v[vgprValuC+31], v8, v9             // Clipping f32 value if exceeds the limit
v_cndmask_b32 v6, v6, v[vgprValuC+31], s[34:35]    // 
v_cvt_pk_bf8_f32  v31, v6, v6                      // convert f32 accumulated values to fp8
buffer_store_byte v31, v11, s[sgprSrdD:sgprSrdD+3], 0, offen, offset:64,  sc0 sc1 // store D
v_cmp_class_f32 s[34:35], v[vgprValuC+32], v10     // check NaN and +/-INF
v_med3_f32 v6, v[vgprValuC+32], v8, v9             // Clipping f32 value if exceeds the limit
v_cndmask_b32 v6, v6, v[vgprValuC+32], s[34:35]    // 
v_cvt_pk_bf8_f32  v32, v6, v6                      // convert f32 accumulated values to fp8
buffer_store_byte v32, v11, s[sgprSrdD:sgprSrdD+3], 0, offen, offset:96,  sc0 sc1 // store D
v_cmp_class_f32 s[34:35], v[vgprValuC+33], v10     // check NaN and +/-INF
v_med3_f32 v6, v[vgprValuC+33], v8, v9             // Clipping f32 value if exceeds the limit
v_cndmask_b32 v6, v6, v[vgprValuC+33], s[34:35]    // 
v_cvt_pk_bf8_f32  v33, v6, v6                      // convert f32 accumulated values to fp8
buffer_store_byte v33, v11, s[sgprSrdD:sgprSrdD+3], 0, offen, offset:128,  sc0 sc1 // store D
v_cmp_class_f32 s[34:35], v[vgprValuC+34], v10     // check NaN and +/-INF
v_med3_f32 v6, v[vgprValuC+34], v8, v9             // Clipping f32 value if exceeds the limit
v_cndmask_b32 v6, v6, v[vgprValuC+34], s[34:35]    // 
v_cvt_pk_bf8_f32  v34, v6, v6                      // convert f32 accumulated values to fp8
buffer_store_byte v34, v11, s[sgprSrdD:sgprSrdD+3], 0, offen, offset:160,  sc0 sc1 // store D
v_cmp_class_f32 s[34:35], v[vgprValuC+35], v10     // check NaN and +/-INF
v_med3_f32 v6, v[vgprValuC+35], v8, v9             // Clipping f32 value if exceeds the limit
v_cndmask_b32 v6, v6, v[vgprValuC+35], s[34:35]    // 
v_cvt_pk_bf8_f32  v35, v6, v6                      // convert f32 accumulated values to fp8
buffer_store_byte v35, v11, s[sgprSrdD:sgprSrdD+3], 0, offen, offset:192,  sc0 sc1 // store D
v_cmp_class_f32 s[34:35], v[vgprValuC+36], v10     // check NaN and +/-INF
v_med3_f32 v6, v[vgprValuC+36], v8, v9             // Clipping f32 value if exceeds the limit
v_cndmask_b32 v6, v6, v[vgprValuC+36], s[34:35]    // 
v_cvt_pk_bf8_f32  v36, v6, v6                      // convert f32 accumulated values to fp8
buffer_store_byte v36, v11, s[sgprSrdD:sgprSrdD+3], 0, offen, offset:224,  sc0 sc1 // store D
	;; [unrolled: 43-line block ×3, first 2 shown]
v_cmp_class_f32 s[34:35], v[vgprValuC+45], v10     // check NaN and +/-INF
v_med3_f32 v6, v[vgprValuC+45], v8, v9             // Clipping f32 value if exceeds the limit
v_cndmask_b32 v6, v6, v[vgprValuC+45], s[34:35]    // 
v_cvt_pk_bf8_f32  v45, v6, v6                      // convert f32 accumulated values to fp8
s_mul_i32 s34, s[sgprStrideD1J], 5                 // scale StrideD *= numRows(5) * bpe
s_add_u32  s[sgprSrdD+0], s[sgprSrdD+0], s34       // incToNextRow: gra SRD += inc(lower)
s_addc_u32  s[sgprSrdD+1], s[sgprSrdD+1], 0        // incToNextRow: gra SRD += inc(upper)
buffer_store_byte v45, v11, s[sgprSrdD:sgprSrdD+3], 0, offen, offset:0,  sc0 sc1 // store D
v_cmp_class_f32 s[34:35], v[vgprValuC+46], v10     // check NaN and +/-INF
v_med3_f32 v6, v[vgprValuC+46], v8, v9             // Clipping f32 value if exceeds the limit
v_cndmask_b32 v6, v6, v[vgprValuC+46], s[34:35]    // 
v_cvt_pk_bf8_f32  v46, v6, v6                      // convert f32 accumulated values to fp8
buffer_store_byte v46, v11, s[sgprSrdD:sgprSrdD+3], 0, offen, offset:32,  sc0 sc1 // store D
v_cmp_class_f32 s[34:35], v[vgprValuC+47], v10     // check NaN and +/-INF
v_med3_f32 v6, v[vgprValuC+47], v8, v9             // Clipping f32 value if exceeds the limit
v_cndmask_b32 v6, v6, v[vgprValuC+47], s[34:35]    // 
v_cvt_pk_bf8_f32  v47, v6, v6                      // convert f32 accumulated values to fp8
buffer_store_byte v47, v11, s[sgprSrdD:sgprSrdD+3], 0, offen, offset:64,  sc0 sc1 // store D
v_cmp_class_f32 s[34:35], v[vgprValuC+48], v10     // check NaN and +/-INF
v_med3_f32 v6, v[vgprValuC+48], v8, v9             // Clipping f32 value if exceeds the limit
v_cndmask_b32 v6, v6, v[vgprValuC+48], s[34:35]    // 
v_cvt_pk_bf8_f32  v48, v6, v6                      // convert f32 accumulated values to fp8
buffer_store_byte v48, v11, s[sgprSrdD:sgprSrdD+3], 0, offen, offset:96,  sc0 sc1 // store D
v_cmp_class_f32 s[34:35], v[vgprValuC+49], v10     // check NaN and +/-INF
v_med3_f32 v6, v[vgprValuC+49], v8, v9             // Clipping f32 value if exceeds the limit
v_cndmask_b32 v6, v6, v[vgprValuC+49], s[34:35]    // 
v_cvt_pk_bf8_f32  v49, v6, v6                      // convert f32 accumulated values to fp8
buffer_store_byte v49, v11, s[sgprSrdD:sgprSrdD+3], 0, offen, offset:128,  sc0 sc1 // store D
v_cmp_class_f32 s[34:35], v[vgprValuC+50], v10     // check NaN and +/-INF
v_med3_f32 v6, v[vgprValuC+50], v8, v9             // Clipping f32 value if exceeds the limit
v_cndmask_b32 v6, v6, v[vgprValuC+50], s[34:35]    // 
v_cvt_pk_bf8_f32  v50, v6, v6                      // convert f32 accumulated values to fp8
buffer_store_byte v50, v11, s[sgprSrdD:sgprSrdD+3], 0, offen, offset:160,  sc0 sc1 // store D
v_cmp_class_f32 s[34:35], v[vgprValuC+51], v10     // check NaN and +/-INF
v_med3_f32 v6, v[vgprValuC+51], v8, v9             // Clipping f32 value if exceeds the limit
v_cndmask_b32 v6, v6, v[vgprValuC+51], s[34:35]    // 
v_cvt_pk_bf8_f32  v51, v6, v6                      // convert f32 accumulated values to fp8
buffer_store_byte v51, v11, s[sgprSrdD:sgprSrdD+3], 0, offen, offset:192,  sc0 sc1 // store D
v_cmp_class_f32 s[34:35], v[vgprValuC+52], v10     // check NaN and +/-INF
v_med3_f32 v6, v[vgprValuC+52], v8, v9             // Clipping f32 value if exceeds the limit
v_cndmask_b32 v6, v6, v[vgprValuC+52], s[34:35]    // 
v_cvt_pk_bf8_f32  v52, v6, v6                      // convert f32 accumulated values to fp8
buffer_store_byte v52, v11, s[sgprSrdD:sgprSrdD+3], 0, offen, offset:224,  sc0 sc1 // store D
v_cmp_class_f32 s[34:35], v[vgprValuC+53], v10     // check NaN and +/-INF
v_med3_f32 v6, v[vgprValuC+53], v8, v9             // Clipping f32 value if exceeds the limit
v_cndmask_b32 v6, v6, v[vgprValuC+53], s[34:35]    // 
v_cvt_pk_bf8_f32  v53, v6, v6                      // convert f32 accumulated values to fp8
s_lshl_b32  s34, s[sgprStrideD1J], 0               // incToNextRow: Scale by BPE
s_add_u32  s[sgprSrdD+0], s[sgprSrdD+0], s34       // incToNextRow: gra SRD += inc(lower)
s_addc_u32  s[sgprSrdD+1], s[sgprSrdD+1], 0        // incToNextRow: gra SRD += inc(upper)
buffer_store_byte v53, v11, s[sgprSrdD:sgprSrdD+3], 0, offen, offset:0,  sc0 sc1 // store D
v_cmp_class_f32 s[34:35], v[vgprValuC+54], v10     // check NaN and +/-INF
v_med3_f32 v6, v[vgprValuC+54], v8, v9             // Clipping f32 value if exceeds the limit
v_cndmask_b32 v6, v6, v[vgprValuC+54], s[34:35]    // 
v_cvt_pk_bf8_f32  v54, v6, v6                      // convert f32 accumulated values to fp8
buffer_store_byte v54, v11, s[sgprSrdD:sgprSrdD+3], 0, offen, offset:32,  sc0 sc1 // store D
v_cmp_class_f32 s[34:35], v[vgprValuC+55], v10     // check NaN and +/-INF
v_med3_f32 v6, v[vgprValuC+55], v8, v9             // Clipping f32 value if exceeds the limit
v_cndmask_b32 v6, v6, v[vgprValuC+55], s[34:35]    // 
v_cvt_pk_bf8_f32  v55, v6, v6                      // convert f32 accumulated values to fp8
buffer_store_byte v55, v11, s[sgprSrdD:sgprSrdD+3], 0, offen, offset:64,  sc0 sc1 // store D
v_cmp_class_f32 s[34:35], v[vgprValuC+56], v10     // check NaN and +/-INF
v_med3_f32 v6, v[vgprValuC+56], v8, v9             // Clipping f32 value if exceeds the limit
v_cndmask_b32 v6, v6, v[vgprValuC+56], s[34:35]    // 
v_cvt_pk_bf8_f32  v56, v6, v6                      // convert f32 accumulated values to fp8
buffer_store_byte v56, v11, s[sgprSrdD:sgprSrdD+3], 0, offen, offset:96,  sc0 sc1 // store D
v_cmp_class_f32 s[34:35], v[vgprValuC+57], v10     // check NaN and +/-INF
v_med3_f32 v6, v[vgprValuC+57], v8, v9             // Clipping f32 value if exceeds the limit
v_cndmask_b32 v6, v6, v[vgprValuC+57], s[34:35]    // 
v_cvt_pk_bf8_f32  v57, v6, v6                      // convert f32 accumulated values to fp8
buffer_store_byte v57, v11, s[sgprSrdD:sgprSrdD+3], 0, offen, offset:128,  sc0 sc1 // store D
v_cmp_class_f32 s[34:35], v[vgprValuC+58], v10     // check NaN and +/-INF
v_med3_f32 v6, v[vgprValuC+58], v8, v9             // Clipping f32 value if exceeds the limit
v_cndmask_b32 v6, v6, v[vgprValuC+58], s[34:35]    // 
v_cvt_pk_bf8_f32  v58, v6, v6                      // convert f32 accumulated values to fp8
buffer_store_byte v58, v11, s[sgprSrdD:sgprSrdD+3], 0, offen, offset:160,  sc0 sc1 // store D
v_cmp_class_f32 s[34:35], v[vgprValuC+59], v10     // check NaN and +/-INF
v_med3_f32 v6, v[vgprValuC+59], v8, v9             // Clipping f32 value if exceeds the limit
v_cndmask_b32 v6, v6, v[vgprValuC+59], s[34:35]    // 
v_cvt_pk_bf8_f32  v59, v6, v6                      // convert f32 accumulated values to fp8
buffer_store_byte v59, v11, s[sgprSrdD:sgprSrdD+3], 0, offen, offset:192,  sc0 sc1 // store D
v_cmp_class_f32 s[34:35], v[vgprValuC+60], v10     // check NaN and +/-INF
v_med3_f32 v6, v[vgprValuC+60], v8, v9             // Clipping f32 value if exceeds the limit
v_cndmask_b32 v6, v6, v[vgprValuC+60], s[34:35]    // 
v_cvt_pk_bf8_f32  v60, v6, v6                      // convert f32 accumulated values to fp8
buffer_store_byte v60, v11, s[sgprSrdD:sgprSrdD+3], 0, offen, offset:224,  sc0 sc1 // store D
v_cmp_class_f32 s[34:35], v[vgprValuC+61], v10     // check NaN and +/-INF
v_med3_f32 v6, v[vgprValuC+61], v8, v9             // Clipping f32 value if exceeds the limit
v_cndmask_b32 v6, v6, v[vgprValuC+61], s[34:35]    // 
v_cvt_pk_bf8_f32  v61, v6, v6                      // convert f32 accumulated values to fp8
s_lshl_b32  s34, s[sgprStrideD1J], 0               // incToNextRow: Scale by BPE
	;; [unrolled: 43-line block ×3, first 2 shown]
s_add_u32  s[sgprSrdD+0], s[sgprSrdD+0], s34       // incToNextRow: gra SRD += inc(lower)
s_addc_u32  s[sgprSrdD+1], s[sgprSrdD+1], 0        // incToNextRow: gra SRD += inc(upper)
buffer_store_byte v69, v11, s[sgprSrdD:sgprSrdD+3], 0, offen, offset:0,  sc0 sc1 // store D
v_cmp_class_f32 s[34:35], v[vgprValuC+70], v10     // check NaN and +/-INF
v_med3_f32 v6, v[vgprValuC+70], v8, v9             // Clipping f32 value if exceeds the limit
v_cndmask_b32 v6, v6, v[vgprValuC+70], s[34:35]    // 
v_cvt_pk_bf8_f32  v70, v6, v6                      // convert f32 accumulated values to fp8
buffer_store_byte v70, v11, s[sgprSrdD:sgprSrdD+3], 0, offen, offset:32,  sc0 sc1 // store D
v_cmp_class_f32 s[34:35], v[vgprValuC+71], v10     // check NaN and +/-INF
v_med3_f32 v6, v[vgprValuC+71], v8, v9             // Clipping f32 value if exceeds the limit
v_cndmask_b32 v6, v6, v[vgprValuC+71], s[34:35]    // 
v_cvt_pk_bf8_f32  v71, v6, v6                      // convert f32 accumulated values to fp8
	;; [unrolled: 5-line block ×8, first 2 shown]
s_mul_i32 s34, s[sgprStrideD1J], 5                 // scale StrideD *= numRows(5) * bpe
s_add_u32  s[sgprSrdD+0], s[sgprSrdD+0], s34       // incToNextRow: gra SRD += inc(lower)
s_addc_u32  s[sgprSrdD+1], s[sgprSrdD+1], 0        // incToNextRow: gra SRD += inc(upper)
buffer_store_byte v77, v11, s[sgprSrdD:sgprSrdD+3], 0, offen, offset:0,  sc0 sc1 // store D
v_cmp_class_f32 s[34:35], v[vgprValuC+78], v10     // check NaN and +/-INF
v_med3_f32 v6, v[vgprValuC+78], v8, v9             // Clipping f32 value if exceeds the limit
v_cndmask_b32 v6, v6, v[vgprValuC+78], s[34:35]    // 
v_cvt_pk_bf8_f32  v78, v6, v6                      // convert f32 accumulated values to fp8
buffer_store_byte v78, v11, s[sgprSrdD:sgprSrdD+3], 0, offen, offset:32,  sc0 sc1 // store D
v_cmp_class_f32 s[34:35], v[vgprValuC+79], v10     // check NaN and +/-INF
v_med3_f32 v6, v[vgprValuC+79], v8, v9             // Clipping f32 value if exceeds the limit
v_cndmask_b32 v6, v6, v[vgprValuC+79], s[34:35]    // 
v_cvt_pk_bf8_f32  v79, v6, v6                      // convert f32 accumulated values to fp8
	;; [unrolled: 5-line block ×8, first 2 shown]
s_lshl_b32  s34, s[sgprStrideD1J], 0               // incToNextRow: Scale by BPE
s_add_u32  s[sgprSrdD+0], s[sgprSrdD+0], s34       // incToNextRow: gra SRD += inc(lower)
s_addc_u32  s[sgprSrdD+1], s[sgprSrdD+1], 0        // incToNextRow: gra SRD += inc(upper)
buffer_store_byte v85, v11, s[sgprSrdD:sgprSrdD+3], 0, offen, offset:0,  sc0 sc1 // store D
v_cmp_class_f32 s[34:35], v[vgprValuC+86], v10     // check NaN and +/-INF
v_med3_f32 v6, v[vgprValuC+86], v8, v9             // Clipping f32 value if exceeds the limit
v_cndmask_b32 v6, v6, v[vgprValuC+86], s[34:35]    // 
v_cvt_pk_bf8_f32  v86, v6, v6                      // convert f32 accumulated values to fp8
buffer_store_byte v86, v11, s[sgprSrdD:sgprSrdD+3], 0, offen, offset:32,  sc0 sc1 // store D
v_cmp_class_f32 s[34:35], v[vgprValuC+87], v10     // check NaN and +/-INF
v_med3_f32 v6, v[vgprValuC+87], v8, v9             // Clipping f32 value if exceeds the limit
v_cndmask_b32 v6, v6, v[vgprValuC+87], s[34:35]    // 
v_cvt_pk_bf8_f32  v87, v6, v6                      // convert f32 accumulated values to fp8
	;; [unrolled: 5-line block ×8, first 2 shown]
s_lshl_b32  s34, s[sgprStrideD1J], 0               // incToNextRow: Scale by BPE
s_add_u32  s[sgprSrdD+0], s[sgprSrdD+0], s34       // incToNextRow: gra SRD += inc(lower)
s_addc_u32  s[sgprSrdD+1], s[sgprSrdD+1], 0        // incToNextRow: gra SRD += inc(upper)
buffer_store_byte v93, v11, s[sgprSrdD:sgprSrdD+3], 0, offen, offset:0,  sc0 sc1 // store D
v_cmp_class_f32 s[34:35], v[vgprValuC+94], v10     // check NaN and +/-INF
v_med3_f32 v6, v[vgprValuC+94], v8, v9             // Clipping f32 value if exceeds the limit
v_cndmask_b32 v6, v6, v[vgprValuC+94], s[34:35]    // 
v_cvt_pk_bf8_f32  v94, v6, v6                      // convert f32 accumulated values to fp8
buffer_store_byte v94, v11, s[sgprSrdD:sgprSrdD+3], 0, offen, offset:32,  sc0 sc1 // store D
v_cmp_class_f32 s[34:35], v[vgprValuC+95], v10     // check NaN and +/-INF
v_med3_f32 v6, v[vgprValuC+95], v8, v9             // Clipping f32 value if exceeds the limit
v_cndmask_b32 v6, v6, v[vgprValuC+95], s[34:35]    // 
v_cvt_pk_bf8_f32  v95, v6, v6                      // convert f32 accumulated values to fp8
	;; [unrolled: 5-line block ×6, first 2 shown]
buffer_store_byte v99, v11, s[sgprSrdD:sgprSrdD+3], 0, offen, offset:192,  sc0 sc1 // store D
v_cmp_class_f32 s[34:35], v[vgprValuC+100], v10    // check NaN and +/-INF
v_med3_f32 v6, v[vgprValuC+100], v8, v9            // Clipping f32 value if exceeds the limit
v_cndmask_b32 v6, v6, v[vgprValuC+100], s[34:35]   // 
v_cvt_pk_bf8_f32  v100, v6, v6                     // convert f32 accumulated values to fp8
buffer_store_byte v100, v11, s[sgprSrdD:sgprSrdD+3], 0, offen, offset:224,  sc0 sc1 // store D
v_cmp_class_f32 s[34:35], v[vgprValuC+101], v10    // check NaN and +/-INF
v_med3_f32 v6, v[vgprValuC+101], v8, v9            // Clipping f32 value if exceeds the limit
v_cndmask_b32 v6, v6, v[vgprValuC+101], s[34:35]   // 
v_cvt_pk_bf8_f32  v101, v6, v6                     // convert f32 accumulated values to fp8
s_lshl_b32  s34, s[sgprStrideD1J], 0               // incToNextRow: Scale by BPE
s_add_u32  s[sgprSrdD+0], s[sgprSrdD+0], s34       // incToNextRow: gra SRD += inc(lower)
s_addc_u32  s[sgprSrdD+1], s[sgprSrdD+1], 0        // incToNextRow: gra SRD += inc(upper)
buffer_store_byte v101, v11, s[sgprSrdD:sgprSrdD+3], 0, offen, offset:0,  sc0 sc1 // store D
v_cmp_class_f32 s[34:35], v[vgprValuC+102], v10    // check NaN and +/-INF
v_med3_f32 v6, v[vgprValuC+102], v8, v9            // Clipping f32 value if exceeds the limit
v_cndmask_b32 v6, v6, v[vgprValuC+102], s[34:35]   // 
v_cvt_pk_bf8_f32  v102, v6, v6                     // convert f32 accumulated values to fp8
buffer_store_byte v102, v11, s[sgprSrdD:sgprSrdD+3], 0, offen, offset:32,  sc0 sc1 // store D
v_cmp_class_f32 s[34:35], v[vgprValuC+103], v10    // check NaN and +/-INF
v_med3_f32 v6, v[vgprValuC+103], v8, v9            // Clipping f32 value if exceeds the limit
v_cndmask_b32 v6, v6, v[vgprValuC+103], s[34:35]   // 
v_cvt_pk_bf8_f32  v103, v6, v6                     // convert f32 accumulated values to fp8
	;; [unrolled: 5-line block ×8, first 2 shown]
s_mul_i32 s34, s[sgprStrideD1J], 5                 // scale StrideD *= numRows(5) * bpe
s_add_u32  s[sgprSrdD+0], s[sgprSrdD+0], s34       // incToNextRow: gra SRD += inc(lower)
s_addc_u32  s[sgprSrdD+1], s[sgprSrdD+1], 0        // incToNextRow: gra SRD += inc(upper)
buffer_store_byte v109, v11, s[sgprSrdD:sgprSrdD+3], 0, offen, offset:0,  sc0 sc1 // store D
v_cmp_class_f32 s[34:35], v[vgprValuC+110], v10    // check NaN and +/-INF
v_med3_f32 v6, v[vgprValuC+110], v8, v9            // Clipping f32 value if exceeds the limit
v_cndmask_b32 v6, v6, v[vgprValuC+110], s[34:35]   // 
v_cvt_pk_bf8_f32  v110, v6, v6                     // convert f32 accumulated values to fp8
buffer_store_byte v110, v11, s[sgprSrdD:sgprSrdD+3], 0, offen, offset:32,  sc0 sc1 // store D
v_cmp_class_f32 s[34:35], v[vgprValuC+111], v10    // check NaN and +/-INF
v_med3_f32 v6, v[vgprValuC+111], v8, v9            // Clipping f32 value if exceeds the limit
v_cndmask_b32 v6, v6, v[vgprValuC+111], s[34:35]   // 
v_cvt_pk_bf8_f32  v111, v6, v6                     // convert f32 accumulated values to fp8
buffer_store_byte v111, v11, s[sgprSrdD:sgprSrdD+3], 0, offen, offset:64,  sc0 sc1 // store D
v_cmp_class_f32 s[34:35], v[vgprValuC+112], v10    // check NaN and +/-INF
v_med3_f32 v6, v[vgprValuC+112], v8, v9            // Clipping f32 value if exceeds the limit
v_cndmask_b32 v6, v6, v[vgprValuC+112], s[34:35]   // 
v_cvt_pk_bf8_f32  v112, v6, v6                     // convert f32 accumulated values to fp8
buffer_store_byte v112, v11, s[sgprSrdD:sgprSrdD+3], 0, offen, offset:96,  sc0 sc1 // store D
v_cmp_class_f32 s[34:35], v[vgprValuC+113], v10    // check NaN and +/-INF
v_med3_f32 v6, v[vgprValuC+113], v8, v9            // Clipping f32 value if exceeds the limit
v_cndmask_b32 v6, v6, v[vgprValuC+113], s[34:35]   // 
v_cvt_pk_bf8_f32  v113, v6, v6                     // convert f32 accumulated values to fp8
buffer_store_byte v113, v11, s[sgprSrdD:sgprSrdD+3], 0, offen, offset:128,  sc0 sc1 // store D
v_cmp_class_f32 s[34:35], v[vgprValuC+114], v10    // check NaN and +/-INF
v_med3_f32 v6, v[vgprValuC+114], v8, v9            // Clipping f32 value if exceeds the limit
v_cndmask_b32 v6, v6, v[vgprValuC+114], s[34:35]   // 
v_cvt_pk_bf8_f32  v114, v6, v6                     // convert f32 accumulated values to fp8
buffer_store_byte v114, v11, s[sgprSrdD:sgprSrdD+3], 0, offen, offset:160,  sc0 sc1 // store D
v_cmp_class_f32 s[34:35], v[vgprValuC+115], v10    // check NaN and +/-INF
v_med3_f32 v6, v[vgprValuC+115], v8, v9            // Clipping f32 value if exceeds the limit
v_cndmask_b32 v6, v6, v[vgprValuC+115], s[34:35]   // 
v_cvt_pk_bf8_f32  v115, v6, v6                     // convert f32 accumulated values to fp8
buffer_store_byte v115, v11, s[sgprSrdD:sgprSrdD+3], 0, offen, offset:192,  sc0 sc1 // store D
v_cmp_class_f32 s[34:35], v[vgprValuC+119], v10    // check NaN and +/-INF
v_med3_f32 v6, v[vgprValuC+119], v8, v9            // Clipping f32 value if exceeds the limit
v_cndmask_b32 v6, v6, v[vgprValuC+119], s[34:35]   // 
v_cvt_pk_bf8_f32  v119, v6, v6                     // convert f32 accumulated values to fp8
buffer_store_byte v119, v11, s[sgprSrdD:sgprSrdD+3], 0, offen, offset:224,  sc0 sc1 // store D
v_cmp_class_f32 s[34:35], v[vgprValuC+120], v10    // check NaN and +/-INF
v_med3_f32 v6, v[vgprValuC+120], v8, v9            // Clipping f32 value if exceeds the limit
v_cndmask_b32 v6, v6, v[vgprValuC+120], s[34:35]   // 
v_cvt_pk_bf8_f32  v120, v6, v6                     // convert f32 accumulated values to fp8
s_lshl_b32  s34, s[sgprStrideD1J], 0               // incToNextRow: Scale by BPE
s_add_u32  s[sgprSrdD+0], s[sgprSrdD+0], s34       // incToNextRow: gra SRD += inc(lower)
s_addc_u32  s[sgprSrdD+1], s[sgprSrdD+1], 0        // incToNextRow: gra SRD += inc(upper)
buffer_store_byte v120, v11, s[sgprSrdD:sgprSrdD+3], 0, offen, offset:0,  sc0 sc1 // store D
v_cmp_class_f32 s[34:35], v[vgprValuC+121], v10    // check NaN and +/-INF
v_med3_f32 v6, v[vgprValuC+121], v8, v9            // Clipping f32 value if exceeds the limit
v_cndmask_b32 v6, v6, v[vgprValuC+121], s[34:35]   // 
v_cvt_pk_bf8_f32  v121, v6, v6                     // convert f32 accumulated values to fp8
buffer_store_byte v121, v11, s[sgprSrdD:sgprSrdD+3], 0, offen, offset:32,  sc0 sc1 // store D
v_cmp_class_f32 s[34:35], v[vgprValuC+122], v10    // check NaN and +/-INF
v_med3_f32 v6, v[vgprValuC+122], v8, v9            // Clipping f32 value if exceeds the limit
v_cndmask_b32 v6, v6, v[vgprValuC+122], s[34:35]   // 
v_cvt_pk_bf8_f32  v122, v6, v6                     // convert f32 accumulated values to fp8
buffer_store_byte v122, v11, s[sgprSrdD:sgprSrdD+3], 0, offen, offset:64,  sc0 sc1 // store D
v_cmp_class_f32 s[34:35], v[vgprValuC+123], v10    // check NaN and +/-INF
v_med3_f32 v6, v[vgprValuC+123], v8, v9            // Clipping f32 value if exceeds the limit
v_cndmask_b32 v6, v6, v[vgprValuC+123], s[34:35]   // 
v_cvt_pk_bf8_f32  v123, v6, v6                     // convert f32 accumulated values to fp8
buffer_store_byte v123, v11, s[sgprSrdD:sgprSrdD+3], 0, offen, offset:96,  sc0 sc1 // store D
v_cmp_class_f32 s[34:35], v[vgprValuC+124], v10    // check NaN and +/-INF
v_med3_f32 v6, v[vgprValuC+124], v8, v9            // Clipping f32 value if exceeds the limit
v_cndmask_b32 v6, v6, v[vgprValuC+124], s[34:35]   // 
v_cvt_pk_bf8_f32  v124, v6, v6                     // convert f32 accumulated values to fp8
buffer_store_byte v124, v11, s[sgprSrdD:sgprSrdD+3], 0, offen, offset:128,  sc0 sc1 // store D
v_cmp_class_f32 s[34:35], v[vgprValuC+125], v10    // check NaN and +/-INF
v_med3_f32 v6, v[vgprValuC+125], v8, v9            // Clipping f32 value if exceeds the limit
v_cndmask_b32 v6, v6, v[vgprValuC+125], s[34:35]   // 
v_cvt_pk_bf8_f32  v125, v6, v6                     // convert f32 accumulated values to fp8
buffer_store_byte v125, v11, s[sgprSrdD:sgprSrdD+3], 0, offen, offset:160,  sc0 sc1 // store D
v_cmp_class_f32 s[34:35], v[vgprValuC+126], v10    // check NaN and +/-INF
v_med3_f32 v6, v[vgprValuC+126], v8, v9            // Clipping f32 value if exceeds the limit
v_cndmask_b32 v6, v6, v[vgprValuC+126], s[34:35]   // 
v_cvt_pk_bf8_f32  v126, v6, v6                     // convert f32 accumulated values to fp8
buffer_store_byte v126, v11, s[sgprSrdD:sgprSrdD+3], 0, offen, offset:192,  sc0 sc1 // store D
v_cmp_class_f32 s[34:35], v[vgprValuC+127], v10    // check NaN and +/-INF
v_med3_f32 v6, v[vgprValuC+127], v8, v9            // Clipping f32 value if exceeds the limit
v_cndmask_b32 v6, v6, v[vgprValuC+127], s[34:35]   // 
v_cvt_pk_bf8_f32  v127, v6, v6                     // convert f32 accumulated values to fp8
buffer_store_byte v127, v11, s[sgprSrdD:sgprSrdD+3], 0, offen, offset:224,  sc0 sc1 // store D
v_cmp_class_f32 s[34:35], v[vgprValuC+128], v10    // check NaN and +/-INF
v_med3_f32 v6, v[vgprValuC+128], v8, v9            // Clipping f32 value if exceeds the limit
v_cndmask_b32 v6, v6, v[vgprValuC+128], s[34:35]   // 
v_cvt_pk_bf8_f32  v128, v6, v6                     // convert f32 accumulated values to fp8
s_lshl_b32  s34, s[sgprStrideD1J], 0               // incToNextRow: Scale by BPE
	;; [unrolled: 43-line block ×3, first 2 shown]
s_add_u32  s[sgprSrdD+0], s[sgprSrdD+0], s34       // incToNextRow: gra SRD += inc(lower)
s_addc_u32  s[sgprSrdD+1], s[sgprSrdD+1], 0        // incToNextRow: gra SRD += inc(upper)
buffer_store_byte v136, v11, s[sgprSrdD:sgprSrdD+3], 0, offen, offset:0,  sc0 sc1 // store D
v_cmp_class_f32 s[34:35], v[vgprValuC+137], v10    // check NaN and +/-INF
v_med3_f32 v6, v[vgprValuC+137], v8, v9            // Clipping f32 value if exceeds the limit
v_cndmask_b32 v6, v6, v[vgprValuC+137], s[34:35]   // 
v_cvt_pk_bf8_f32  v137, v6, v6                     // convert f32 accumulated values to fp8
buffer_store_byte v137, v11, s[sgprSrdD:sgprSrdD+3], 0, offen, offset:32,  sc0 sc1 // store D
v_cmp_class_f32 s[34:35], v[vgprValuC+138], v10    // check NaN and +/-INF
v_med3_f32 v6, v[vgprValuC+138], v8, v9            // Clipping f32 value if exceeds the limit
v_cndmask_b32 v6, v6, v[vgprValuC+138], s[34:35]   // 
v_cvt_pk_bf8_f32  v138, v6, v6                     // convert f32 accumulated values to fp8
	;; [unrolled: 5-line block ×8, first 2 shown]
s_mul_i32 s34, s[sgprStrideD1J], 101               // scale StrideD *= numRows(101) * bpe
s_add_u32  s[sgprSrdD+0], s[sgprSrdD+0], s34       // incToNextRow: gra SRD += inc(lower)
s_addc_u32  s[sgprSrdD+1], s[sgprSrdD+1], 0        // incToNextRow: gra SRD += inc(upper)
buffer_store_byte v144, v11, s[sgprSrdD:sgprSrdD+3], 0, offen, offset:0,  sc0 sc1 // store D
v_cmp_class_f32 s[34:35], v[vgprValuC+145], v10    // check NaN and +/-INF
v_med3_f32 v6, v[vgprValuC+145], v8, v9            // Clipping f32 value if exceeds the limit
v_cndmask_b32 v6, v6, v[vgprValuC+145], s[34:35]   // 
v_cvt_pk_bf8_f32  v145, v6, v6                     // convert f32 accumulated values to fp8
buffer_store_byte v145, v11, s[sgprSrdD:sgprSrdD+3], 0, offen, offset:32,  sc0 sc1 // store D
v_cmp_class_f32 s[34:35], v[vgprValuC+146], v10    // check NaN and +/-INF
v_med3_f32 v6, v[vgprValuC+146], v8, v9            // Clipping f32 value if exceeds the limit
v_cndmask_b32 v6, v6, v[vgprValuC+146], s[34:35]   // 
v_cvt_pk_bf8_f32  v146, v6, v6                     // convert f32 accumulated values to fp8
buffer_store_byte v146, v11, s[sgprSrdD:sgprSrdD+3], 0, offen, offset:64,  sc0 sc1 // store D
v_cmp_class_f32 s[34:35], v[vgprValuC+147], v10    // check NaN and +/-INF
v_med3_f32 v6, v[vgprValuC+147], v8, v9            // Clipping f32 value if exceeds the limit
v_cndmask_b32 v6, v6, v[vgprValuC+147], s[34:35]   // 
v_cvt_pk_bf8_f32  v147, v6, v6                     // convert f32 accumulated values to fp8
buffer_store_byte v147, v11, s[sgprSrdD:sgprSrdD+3], 0, offen, offset:96,  sc0 sc1 // store D
v_cmp_class_f32 s[34:35], v[vgprValuC+148], v10    // check NaN and +/-INF
v_med3_f32 v6, v[vgprValuC+148], v8, v9            // Clipping f32 value if exceeds the limit
v_cndmask_b32 v6, v6, v[vgprValuC+148], s[34:35]   // 
v_cvt_pk_bf8_f32  v148, v6, v6                     // convert f32 accumulated values to fp8
buffer_store_byte v148, v11, s[sgprSrdD:sgprSrdD+3], 0, offen, offset:128,  sc0 sc1 // store D
v_cmp_class_f32 s[34:35], v[vgprValuC+149], v10    // check NaN and +/-INF
v_med3_f32 v6, v[vgprValuC+149], v8, v9            // Clipping f32 value if exceeds the limit
v_cndmask_b32 v6, v6, v[vgprValuC+149], s[34:35]   // 
v_cvt_pk_bf8_f32  v149, v6, v6                     // convert f32 accumulated values to fp8
buffer_store_byte v149, v11, s[sgprSrdD:sgprSrdD+3], 0, offen, offset:160,  sc0 sc1 // store D
v_cmp_class_f32 s[34:35], v[vgprValuC+150], v10    // check NaN and +/-INF
v_med3_f32 v6, v[vgprValuC+150], v8, v9            // Clipping f32 value if exceeds the limit
v_cndmask_b32 v6, v6, v[vgprValuC+150], s[34:35]   // 
v_cvt_pk_bf8_f32  v150, v6, v6                     // convert f32 accumulated values to fp8
buffer_store_byte v150, v11, s[sgprSrdD:sgprSrdD+3], 0, offen, offset:192,  sc0 sc1 // store D
v_cmp_class_f32 s[34:35], v[vgprValuC+151], v10    // check NaN and +/-INF
v_med3_f32 v6, v[vgprValuC+151], v8, v9            // Clipping f32 value if exceeds the limit
v_cndmask_b32 v6, v6, v[vgprValuC+151], s[34:35]   // 
v_cvt_pk_bf8_f32  v151, v6, v6                     // convert f32 accumulated values to fp8
buffer_store_byte v151, v11, s[sgprSrdD:sgprSrdD+3], 0, offen, offset:224,  sc0 sc1 // store D
v_cmp_class_f32 s[34:35], v[vgprValuC+152], v10    // check NaN and +/-INF
v_med3_f32 v6, v[vgprValuC+152], v8, v9            // Clipping f32 value if exceeds the limit
v_cndmask_b32 v6, v6, v[vgprValuC+152], s[34:35]   // 
v_cvt_pk_bf8_f32  v152, v6, v6                     // convert f32 accumulated values to fp8
s_lshl_b32  s34, s[sgprStrideD1J], 0               // incToNextRow: Scale by BPE
s_add_u32  s[sgprSrdD+0], s[sgprSrdD+0], s34       // incToNextRow: gra SRD += inc(lower)
s_addc_u32  s[sgprSrdD+1], s[sgprSrdD+1], 0        // incToNextRow: gra SRD += inc(upper)
buffer_store_byte v152, v11, s[sgprSrdD:sgprSrdD+3], 0, offen, offset:0,  sc0 sc1 // store D
v_cmp_class_f32 s[34:35], v[vgprValuC+153], v10    // check NaN and +/-INF
v_med3_f32 v6, v[vgprValuC+153], v8, v9            // Clipping f32 value if exceeds the limit
v_cndmask_b32 v6, v6, v[vgprValuC+153], s[34:35]   // 
v_cvt_pk_bf8_f32  v153, v6, v6                     // convert f32 accumulated values to fp8
buffer_store_byte v153, v11, s[sgprSrdD:sgprSrdD+3], 0, offen, offset:32,  sc0 sc1 // store D
v_cmp_class_f32 s[34:35], v[vgprValuC+154], v10    // check NaN and +/-INF
v_med3_f32 v6, v[vgprValuC+154], v8, v9            // Clipping f32 value if exceeds the limit
v_cndmask_b32 v6, v6, v[vgprValuC+154], s[34:35]   // 
v_cvt_pk_bf8_f32  v154, v6, v6                     // convert f32 accumulated values to fp8
buffer_store_byte v154, v11, s[sgprSrdD:sgprSrdD+3], 0, offen, offset:64,  sc0 sc1 // store D
v_cmp_class_f32 s[34:35], v[vgprValuC+155], v10    // check NaN and +/-INF
v_med3_f32 v6, v[vgprValuC+155], v8, v9            // Clipping f32 value if exceeds the limit
v_cndmask_b32 v6, v6, v[vgprValuC+155], s[34:35]   // 
v_cvt_pk_bf8_f32  v155, v6, v6                     // convert f32 accumulated values to fp8
buffer_store_byte v155, v11, s[sgprSrdD:sgprSrdD+3], 0, offen, offset:96,  sc0 sc1 // store D
v_cmp_class_f32 s[34:35], v[vgprValuC+156], v10    // check NaN and +/-INF
v_med3_f32 v6, v[vgprValuC+156], v8, v9            // Clipping f32 value if exceeds the limit
v_cndmask_b32 v6, v6, v[vgprValuC+156], s[34:35]   // 
v_cvt_pk_bf8_f32  v156, v6, v6                     // convert f32 accumulated values to fp8
buffer_store_byte v156, v11, s[sgprSrdD:sgprSrdD+3], 0, offen, offset:128,  sc0 sc1 // store D
v_cmp_class_f32 s[34:35], v[vgprValuC+157], v10    // check NaN and +/-INF
v_med3_f32 v6, v[vgprValuC+157], v8, v9            // Clipping f32 value if exceeds the limit
v_cndmask_b32 v6, v6, v[vgprValuC+157], s[34:35]   // 
v_cvt_pk_bf8_f32  v157, v6, v6                     // convert f32 accumulated values to fp8
buffer_store_byte v157, v11, s[sgprSrdD:sgprSrdD+3], 0, offen, offset:160,  sc0 sc1 // store D
v_cmp_class_f32 s[34:35], v[vgprValuC+158], v10    // check NaN and +/-INF
v_med3_f32 v6, v[vgprValuC+158], v8, v9            // Clipping f32 value if exceeds the limit
v_cndmask_b32 v6, v6, v[vgprValuC+158], s[34:35]   // 
v_cvt_pk_bf8_f32  v158, v6, v6                     // convert f32 accumulated values to fp8
buffer_store_byte v158, v11, s[sgprSrdD:sgprSrdD+3], 0, offen, offset:192,  sc0 sc1 // store D
v_cmp_class_f32 s[34:35], v[vgprValuC+159], v10    // check NaN and +/-INF
v_med3_f32 v6, v[vgprValuC+159], v8, v9            // Clipping f32 value if exceeds the limit
v_cndmask_b32 v6, v6, v[vgprValuC+159], s[34:35]   // 
v_cvt_pk_bf8_f32  v159, v6, v6                     // convert f32 accumulated values to fp8
buffer_store_byte v159, v11, s[sgprSrdD:sgprSrdD+3], 0, offen, offset:224,  sc0 sc1 // store D
v_cmp_class_f32 s[34:35], v[vgprValuC+160], v10    // check NaN and +/-INF
v_med3_f32 v6, v[vgprValuC+160], v8, v9            // Clipping f32 value if exceeds the limit
v_cndmask_b32 v6, v6, v[vgprValuC+160], s[34:35]   // 
v_cvt_pk_bf8_f32  v160, v6, v6                     // convert f32 accumulated values to fp8
s_lshl_b32  s34, s[sgprStrideD1J], 0               // incToNextRow: Scale by BPE
	;; [unrolled: 43-line block ×3, first 2 shown]
s_add_u32  s[sgprSrdD+0], s[sgprSrdD+0], s34       // incToNextRow: gra SRD += inc(lower)
s_addc_u32  s[sgprSrdD+1], s[sgprSrdD+1], 0        // incToNextRow: gra SRD += inc(upper)
buffer_store_byte v168, v11, s[sgprSrdD:sgprSrdD+3], 0, offen, offset:0,  sc0 sc1 // store D
v_cmp_class_f32 s[34:35], v[vgprValuC+169], v10    // check NaN and +/-INF
v_med3_f32 v6, v[vgprValuC+169], v8, v9            // Clipping f32 value if exceeds the limit
v_cndmask_b32 v6, v6, v[vgprValuC+169], s[34:35]   // 
v_cvt_pk_bf8_f32  v169, v6, v6                     // convert f32 accumulated values to fp8
buffer_store_byte v169, v11, s[sgprSrdD:sgprSrdD+3], 0, offen, offset:32,  sc0 sc1 // store D
v_cmp_class_f32 s[34:35], v[vgprValuC+170], v10    // check NaN and +/-INF
v_med3_f32 v6, v[vgprValuC+170], v8, v9            // Clipping f32 value if exceeds the limit
v_cndmask_b32 v6, v6, v[vgprValuC+170], s[34:35]   // 
v_cvt_pk_bf8_f32  v170, v6, v6                     // convert f32 accumulated values to fp8
	;; [unrolled: 5-line block ×8, first 2 shown]
s_mul_i32 s34, s[sgprStrideD1J], 5                 // scale StrideD *= numRows(5) * bpe
s_add_u32  s[sgprSrdD+0], s[sgprSrdD+0], s34       // incToNextRow: gra SRD += inc(lower)
s_addc_u32  s[sgprSrdD+1], s[sgprSrdD+1], 0        // incToNextRow: gra SRD += inc(upper)
buffer_store_byte v176, v11, s[sgprSrdD:sgprSrdD+3], 0, offen, offset:0,  sc0 sc1 // store D
v_cmp_class_f32 s[34:35], v[vgprValuC+177], v10    // check NaN and +/-INF
v_med3_f32 v6, v[vgprValuC+177], v8, v9            // Clipping f32 value if exceeds the limit
v_cndmask_b32 v6, v6, v[vgprValuC+177], s[34:35]   // 
v_cvt_pk_bf8_f32  v177, v6, v6                     // convert f32 accumulated values to fp8
buffer_store_byte v177, v11, s[sgprSrdD:sgprSrdD+3], 0, offen, offset:32,  sc0 sc1 // store D
v_cmp_class_f32 s[34:35], v[vgprValuC+178], v10    // check NaN and +/-INF
v_med3_f32 v6, v[vgprValuC+178], v8, v9            // Clipping f32 value if exceeds the limit
v_cndmask_b32 v6, v6, v[vgprValuC+178], s[34:35]   // 
v_cvt_pk_bf8_f32  v178, v6, v6                     // convert f32 accumulated values to fp8
buffer_store_byte v178, v11, s[sgprSrdD:sgprSrdD+3], 0, offen, offset:64,  sc0 sc1 // store D
v_cmp_class_f32 s[34:35], v[vgprValuC+179], v10    // check NaN and +/-INF
v_med3_f32 v6, v[vgprValuC+179], v8, v9            // Clipping f32 value if exceeds the limit
v_cndmask_b32 v6, v6, v[vgprValuC+179], s[34:35]   // 
v_cvt_pk_bf8_f32  v179, v6, v6                     // convert f32 accumulated values to fp8
buffer_store_byte v179, v11, s[sgprSrdD:sgprSrdD+3], 0, offen, offset:96,  sc0 sc1 // store D
v_cmp_class_f32 s[34:35], v[vgprValuC+180], v10    // check NaN and +/-INF
v_med3_f32 v6, v[vgprValuC+180], v8, v9            // Clipping f32 value if exceeds the limit
v_cndmask_b32 v6, v6, v[vgprValuC+180], s[34:35]   // 
v_cvt_pk_bf8_f32  v180, v6, v6                     // convert f32 accumulated values to fp8
buffer_store_byte v180, v11, s[sgprSrdD:sgprSrdD+3], 0, offen, offset:128,  sc0 sc1 // store D
v_cmp_class_f32 s[34:35], v[vgprValuC+181], v10    // check NaN and +/-INF
v_med3_f32 v6, v[vgprValuC+181], v8, v9            // Clipping f32 value if exceeds the limit
v_cndmask_b32 v6, v6, v[vgprValuC+181], s[34:35]   // 
v_cvt_pk_bf8_f32  v181, v6, v6                     // convert f32 accumulated values to fp8
buffer_store_byte v181, v11, s[sgprSrdD:sgprSrdD+3], 0, offen, offset:160,  sc0 sc1 // store D
v_cmp_class_f32 s[34:35], v[vgprValuC+182], v10    // check NaN and +/-INF
v_med3_f32 v6, v[vgprValuC+182], v8, v9            // Clipping f32 value if exceeds the limit
v_cndmask_b32 v6, v6, v[vgprValuC+182], s[34:35]   // 
v_cvt_pk_bf8_f32  v182, v6, v6                     // convert f32 accumulated values to fp8
buffer_store_byte v182, v11, s[sgprSrdD:sgprSrdD+3], 0, offen, offset:192,  sc0 sc1 // store D
v_cmp_class_f32 s[34:35], v[vgprValuC+183], v10    // check NaN and +/-INF
v_med3_f32 v6, v[vgprValuC+183], v8, v9            // Clipping f32 value if exceeds the limit
v_cndmask_b32 v6, v6, v[vgprValuC+183], s[34:35]   // 
v_cvt_pk_bf8_f32  v183, v6, v6                     // convert f32 accumulated values to fp8
buffer_store_byte v183, v11, s[sgprSrdD:sgprSrdD+3], 0, offen, offset:224,  sc0 sc1 // store D
v_cmp_class_f32 s[34:35], v[vgprValuC+184], v10    // check NaN and +/-INF
v_med3_f32 v6, v[vgprValuC+184], v8, v9            // Clipping f32 value if exceeds the limit
v_cndmask_b32 v6, v6, v[vgprValuC+184], s[34:35]   // 
v_cvt_pk_bf8_f32  v184, v6, v6                     // convert f32 accumulated values to fp8
s_lshl_b32  s34, s[sgprStrideD1J], 0               // incToNextRow: Scale by BPE
s_add_u32  s[sgprSrdD+0], s[sgprSrdD+0], s34       // incToNextRow: gra SRD += inc(lower)
s_addc_u32  s[sgprSrdD+1], s[sgprSrdD+1], 0        // incToNextRow: gra SRD += inc(upper)
buffer_store_byte v184, v11, s[sgprSrdD:sgprSrdD+3], 0, offen, offset:0,  sc0 sc1 // store D
v_cmp_class_f32 s[34:35], v[vgprValuC+185], v10    // check NaN and +/-INF
v_med3_f32 v6, v[vgprValuC+185], v8, v9            // Clipping f32 value if exceeds the limit
v_cndmask_b32 v6, v6, v[vgprValuC+185], s[34:35]   // 
v_cvt_pk_bf8_f32  v185, v6, v6                     // convert f32 accumulated values to fp8
buffer_store_byte v185, v11, s[sgprSrdD:sgprSrdD+3], 0, offen, offset:32,  sc0 sc1 // store D
v_cmp_class_f32 s[34:35], v[vgprValuC+186], v10    // check NaN and +/-INF
v_med3_f32 v6, v[vgprValuC+186], v8, v9            // Clipping f32 value if exceeds the limit
v_cndmask_b32 v6, v6, v[vgprValuC+186], s[34:35]   // 
v_cvt_pk_bf8_f32  v186, v6, v6                     // convert f32 accumulated values to fp8
buffer_store_byte v186, v11, s[sgprSrdD:sgprSrdD+3], 0, offen, offset:64,  sc0 sc1 // store D
v_cmp_class_f32 s[34:35], v[vgprValuC+187], v10    // check NaN and +/-INF
v_med3_f32 v6, v[vgprValuC+187], v8, v9            // Clipping f32 value if exceeds the limit
v_cndmask_b32 v6, v6, v[vgprValuC+187], s[34:35]   // 
v_cvt_pk_bf8_f32  v187, v6, v6                     // convert f32 accumulated values to fp8
buffer_store_byte v187, v11, s[sgprSrdD:sgprSrdD+3], 0, offen, offset:96,  sc0 sc1 // store D
v_cmp_class_f32 s[34:35], v[vgprValuC+188], v10    // check NaN and +/-INF
v_med3_f32 v6, v[vgprValuC+188], v8, v9            // Clipping f32 value if exceeds the limit
v_cndmask_b32 v6, v6, v[vgprValuC+188], s[34:35]   // 
v_cvt_pk_bf8_f32  v188, v6, v6                     // convert f32 accumulated values to fp8
buffer_store_byte v188, v11, s[sgprSrdD:sgprSrdD+3], 0, offen, offset:128,  sc0 sc1 // store D
v_cmp_class_f32 s[34:35], v[vgprValuC+189], v10    // check NaN and +/-INF
v_med3_f32 v6, v[vgprValuC+189], v8, v9            // Clipping f32 value if exceeds the limit
v_cndmask_b32 v6, v6, v[vgprValuC+189], s[34:35]   // 
v_cvt_pk_bf8_f32  v189, v6, v6                     // convert f32 accumulated values to fp8
buffer_store_byte v189, v11, s[sgprSrdD:sgprSrdD+3], 0, offen, offset:160,  sc0 sc1 // store D
v_cmp_class_f32 s[34:35], v[vgprValuC+190], v10    // check NaN and +/-INF
v_med3_f32 v6, v[vgprValuC+190], v8, v9            // Clipping f32 value if exceeds the limit
v_cndmask_b32 v6, v6, v[vgprValuC+190], s[34:35]   // 
v_cvt_pk_bf8_f32  v190, v6, v6                     // convert f32 accumulated values to fp8
buffer_store_byte v190, v11, s[sgprSrdD:sgprSrdD+3], 0, offen, offset:192,  sc0 sc1 // store D
v_cmp_class_f32 s[34:35], v[vgprValuC+191], v10    // check NaN and +/-INF
v_med3_f32 v6, v[vgprValuC+191], v8, v9            // Clipping f32 value if exceeds the limit
v_cndmask_b32 v6, v6, v[vgprValuC+191], s[34:35]   // 
v_cvt_pk_bf8_f32  v191, v6, v6                     // convert f32 accumulated values to fp8
buffer_store_byte v191, v11, s[sgprSrdD:sgprSrdD+3], 0, offen, offset:224,  sc0 sc1 // store D
v_cmp_class_f32 s[34:35], v[vgprValuC+192], v10    // check NaN and +/-INF
v_med3_f32 v6, v[vgprValuC+192], v8, v9            // Clipping f32 value if exceeds the limit
v_cndmask_b32 v6, v6, v[vgprValuC+192], s[34:35]   // 
v_cvt_pk_bf8_f32  v192, v6, v6                     // convert f32 accumulated values to fp8
s_lshl_b32  s34, s[sgprStrideD1J], 0               // incToNextRow: Scale by BPE
	;; [unrolled: 43-line block ×3, first 2 shown]
s_add_u32  s[sgprSrdD+0], s[sgprSrdD+0], s34       // incToNextRow: gra SRD += inc(lower)
s_addc_u32  s[sgprSrdD+1], s[sgprSrdD+1], 0        // incToNextRow: gra SRD += inc(upper)
buffer_store_byte v200, v11, s[sgprSrdD:sgprSrdD+3], 0, offen, offset:0,  sc0 sc1 // store D
v_cmp_class_f32 s[34:35], v[vgprValuC+201], v10    // check NaN and +/-INF
v_med3_f32 v6, v[vgprValuC+201], v8, v9            // Clipping f32 value if exceeds the limit
v_cndmask_b32 v6, v6, v[vgprValuC+201], s[34:35]   // 
v_cvt_pk_bf8_f32  v201, v6, v6                     // convert f32 accumulated values to fp8
buffer_store_byte v201, v11, s[sgprSrdD:sgprSrdD+3], 0, offen, offset:32,  sc0 sc1 // store D
v_cmp_class_f32 s[34:35], v[vgprValuC+202], v10    // check NaN and +/-INF
v_med3_f32 v6, v[vgprValuC+202], v8, v9            // Clipping f32 value if exceeds the limit
v_cndmask_b32 v6, v6, v[vgprValuC+202], s[34:35]   // 
v_cvt_pk_bf8_f32  v202, v6, v6                     // convert f32 accumulated values to fp8
	;; [unrolled: 5-line block ×8, first 2 shown]
s_mul_i32 s34, s[sgprStrideD1J], 5                 // scale StrideD *= numRows(5) * bpe
s_add_u32  s[sgprSrdD+0], s[sgprSrdD+0], s34       // incToNextRow: gra SRD += inc(lower)
s_addc_u32  s[sgprSrdD+1], s[sgprSrdD+1], 0        // incToNextRow: gra SRD += inc(upper)
buffer_store_byte v208, v11, s[sgprSrdD:sgprSrdD+3], 0, offen, offset:0,  sc0 sc1 // store D
v_cmp_class_f32 s[34:35], v[vgprValuC+209], v10    // check NaN and +/-INF
v_med3_f32 v6, v[vgprValuC+209], v8, v9            // Clipping f32 value if exceeds the limit
v_cndmask_b32 v6, v6, v[vgprValuC+209], s[34:35]   // 
v_cvt_pk_bf8_f32  v209, v6, v6                     // convert f32 accumulated values to fp8
buffer_store_byte v209, v11, s[sgprSrdD:sgprSrdD+3], 0, offen, offset:32,  sc0 sc1 // store D
v_cmp_class_f32 s[34:35], v[vgprValuC+210], v10    // check NaN and +/-INF
v_med3_f32 v6, v[vgprValuC+210], v8, v9            // Clipping f32 value if exceeds the limit
v_cndmask_b32 v6, v6, v[vgprValuC+210], s[34:35]   // 
v_cvt_pk_bf8_f32  v210, v6, v6                     // convert f32 accumulated values to fp8
buffer_store_byte v210, v11, s[sgprSrdD:sgprSrdD+3], 0, offen, offset:64,  sc0 sc1 // store D
v_cmp_class_f32 s[34:35], v[vgprValuC+211], v10    // check NaN and +/-INF
v_med3_f32 v6, v[vgprValuC+211], v8, v9            // Clipping f32 value if exceeds the limit
v_cndmask_b32 v6, v6, v[vgprValuC+211], s[34:35]   // 
v_cvt_pk_bf8_f32  v211, v6, v6                     // convert f32 accumulated values to fp8
buffer_store_byte v211, v11, s[sgprSrdD:sgprSrdD+3], 0, offen, offset:96,  sc0 sc1 // store D
v_cmp_class_f32 s[34:35], v[vgprValuC+212], v10    // check NaN and +/-INF
v_med3_f32 v6, v[vgprValuC+212], v8, v9            // Clipping f32 value if exceeds the limit
v_cndmask_b32 v6, v6, v[vgprValuC+212], s[34:35]   // 
v_cvt_pk_bf8_f32  v212, v6, v6                     // convert f32 accumulated values to fp8
buffer_store_byte v212, v11, s[sgprSrdD:sgprSrdD+3], 0, offen, offset:128,  sc0 sc1 // store D
v_cmp_class_f32 s[34:35], v[vgprValuC+213], v10    // check NaN and +/-INF
v_med3_f32 v6, v[vgprValuC+213], v8, v9            // Clipping f32 value if exceeds the limit
v_cndmask_b32 v6, v6, v[vgprValuC+213], s[34:35]   // 
v_cvt_pk_bf8_f32  v213, v6, v6                     // convert f32 accumulated values to fp8
buffer_store_byte v213, v11, s[sgprSrdD:sgprSrdD+3], 0, offen, offset:160,  sc0 sc1 // store D
v_cmp_class_f32 s[34:35], v[vgprValuC+214], v10    // check NaN and +/-INF
v_med3_f32 v6, v[vgprValuC+214], v8, v9            // Clipping f32 value if exceeds the limit
v_cndmask_b32 v6, v6, v[vgprValuC+214], s[34:35]   // 
v_cvt_pk_bf8_f32  v214, v6, v6                     // convert f32 accumulated values to fp8
buffer_store_byte v214, v11, s[sgprSrdD:sgprSrdD+3], 0, offen, offset:192,  sc0 sc1 // store D
v_cmp_class_f32 s[34:35], v[vgprValuC+215], v10    // check NaN and +/-INF
v_med3_f32 v6, v[vgprValuC+215], v8, v9            // Clipping f32 value if exceeds the limit
v_cndmask_b32 v6, v6, v[vgprValuC+215], s[34:35]   // 
v_cvt_pk_bf8_f32  v215, v6, v6                     // convert f32 accumulated values to fp8
buffer_store_byte v215, v11, s[sgprSrdD:sgprSrdD+3], 0, offen, offset:224,  sc0 sc1 // store D
v_cmp_class_f32 s[34:35], v[vgprValuC+216], v10    // check NaN and +/-INF
v_med3_f32 v6, v[vgprValuC+216], v8, v9            // Clipping f32 value if exceeds the limit
v_cndmask_b32 v6, v6, v[vgprValuC+216], s[34:35]   // 
v_cvt_pk_bf8_f32  v216, v6, v6                     // convert f32 accumulated values to fp8
s_lshl_b32  s34, s[sgprStrideD1J], 0               // incToNextRow: Scale by BPE
s_add_u32  s[sgprSrdD+0], s[sgprSrdD+0], s34       // incToNextRow: gra SRD += inc(lower)
s_addc_u32  s[sgprSrdD+1], s[sgprSrdD+1], 0        // incToNextRow: gra SRD += inc(upper)
buffer_store_byte v216, v11, s[sgprSrdD:sgprSrdD+3], 0, offen, offset:0,  sc0 sc1 // store D
v_cmp_class_f32 s[34:35], v[vgprValuC+217], v10    // check NaN and +/-INF
v_med3_f32 v6, v[vgprValuC+217], v8, v9            // Clipping f32 value if exceeds the limit
v_cndmask_b32 v6, v6, v[vgprValuC+217], s[34:35]   // 
v_cvt_pk_bf8_f32  v217, v6, v6                     // convert f32 accumulated values to fp8
buffer_store_byte v217, v11, s[sgprSrdD:sgprSrdD+3], 0, offen, offset:32,  sc0 sc1 // store D
v_cmp_class_f32 s[34:35], v[vgprValuC+218], v10    // check NaN and +/-INF
v_med3_f32 v6, v[vgprValuC+218], v8, v9            // Clipping f32 value if exceeds the limit
v_cndmask_b32 v6, v6, v[vgprValuC+218], s[34:35]   // 
v_cvt_pk_bf8_f32  v218, v6, v6                     // convert f32 accumulated values to fp8
buffer_store_byte v218, v11, s[sgprSrdD:sgprSrdD+3], 0, offen, offset:64,  sc0 sc1 // store D
v_cmp_class_f32 s[34:35], v[vgprValuC+219], v10    // check NaN and +/-INF
v_med3_f32 v6, v[vgprValuC+219], v8, v9            // Clipping f32 value if exceeds the limit
v_cndmask_b32 v6, v6, v[vgprValuC+219], s[34:35]   // 
v_cvt_pk_bf8_f32  v219, v6, v6                     // convert f32 accumulated values to fp8
buffer_store_byte v219, v11, s[sgprSrdD:sgprSrdD+3], 0, offen, offset:96,  sc0 sc1 // store D
v_cmp_class_f32 s[34:35], v[vgprValuC+220], v10    // check NaN and +/-INF
v_med3_f32 v6, v[vgprValuC+220], v8, v9            // Clipping f32 value if exceeds the limit
v_cndmask_b32 v6, v6, v[vgprValuC+220], s[34:35]   // 
v_cvt_pk_bf8_f32  v220, v6, v6                     // convert f32 accumulated values to fp8
buffer_store_byte v220, v11, s[sgprSrdD:sgprSrdD+3], 0, offen, offset:128,  sc0 sc1 // store D
v_cmp_class_f32 s[34:35], v[vgprValuC+221], v10    // check NaN and +/-INF
v_med3_f32 v6, v[vgprValuC+221], v8, v9            // Clipping f32 value if exceeds the limit
v_cndmask_b32 v6, v6, v[vgprValuC+221], s[34:35]   // 
v_cvt_pk_bf8_f32  v221, v6, v6                     // convert f32 accumulated values to fp8
buffer_store_byte v221, v11, s[sgprSrdD:sgprSrdD+3], 0, offen, offset:160,  sc0 sc1 // store D
v_cmp_class_f32 s[34:35], v[vgprValuC+222], v10    // check NaN and +/-INF
v_med3_f32 v6, v[vgprValuC+222], v8, v9            // Clipping f32 value if exceeds the limit
v_cndmask_b32 v6, v6, v[vgprValuC+222], s[34:35]   // 
v_cvt_pk_bf8_f32  v222, v6, v6                     // convert f32 accumulated values to fp8
buffer_store_byte v222, v11, s[sgprSrdD:sgprSrdD+3], 0, offen, offset:192,  sc0 sc1 // store D
v_cmp_class_f32 s[34:35], v[vgprValuC+223], v10    // check NaN and +/-INF
v_med3_f32 v6, v[vgprValuC+223], v8, v9            // Clipping f32 value if exceeds the limit
v_cndmask_b32 v6, v6, v[vgprValuC+223], s[34:35]   // 
v_cvt_pk_bf8_f32  v223, v6, v6                     // convert f32 accumulated values to fp8
buffer_store_byte v223, v11, s[sgprSrdD:sgprSrdD+3], 0, offen, offset:224,  sc0 sc1 // store D
v_cmp_class_f32 s[34:35], v[vgprValuC+224], v10    // check NaN and +/-INF
v_med3_f32 v6, v[vgprValuC+224], v8, v9            // Clipping f32 value if exceeds the limit
v_cndmask_b32 v6, v6, v[vgprValuC+224], s[34:35]   // 
v_cvt_pk_bf8_f32  v224, v6, v6                     // convert f32 accumulated values to fp8
s_lshl_b32  s34, s[sgprStrideD1J], 0               // incToNextRow: Scale by BPE
	;; [unrolled: 43-line block ×3, first 2 shown]
s_add_u32  s[sgprSrdD+0], s[sgprSrdD+0], s34       // incToNextRow: gra SRD += inc(lower)
s_addc_u32  s[sgprSrdD+1], s[sgprSrdD+1], 0        // incToNextRow: gra SRD += inc(upper)
buffer_store_byte v232, v11, s[sgprSrdD:sgprSrdD+3], 0, offen, offset:0,  sc0 sc1 // store D
v_cmp_class_f32 s[34:35], v[vgprValuC+233], v10    // check NaN and +/-INF
v_med3_f32 v6, v[vgprValuC+233], v8, v9            // Clipping f32 value if exceeds the limit
v_cndmask_b32 v6, v6, v[vgprValuC+233], s[34:35]   // 
v_cvt_pk_bf8_f32  v233, v6, v6                     // convert f32 accumulated values to fp8
buffer_store_byte v233, v11, s[sgprSrdD:sgprSrdD+3], 0, offen, offset:32,  sc0 sc1 // store D
v_cmp_class_f32 s[34:35], v[vgprValuC+234], v10    // check NaN and +/-INF
v_med3_f32 v6, v[vgprValuC+234], v8, v9            // Clipping f32 value if exceeds the limit
v_cndmask_b32 v6, v6, v[vgprValuC+234], s[34:35]   // 
v_cvt_pk_bf8_f32  v234, v6, v6                     // convert f32 accumulated values to fp8
	;; [unrolled: 5-line block ×8, first 2 shown]
s_mul_i32 s34, s[sgprStrideD1J], 5                 // scale StrideD *= numRows(5) * bpe
s_add_u32  s[sgprSrdD+0], s[sgprSrdD+0], s34       // incToNextRow: gra SRD += inc(lower)
s_addc_u32  s[sgprSrdD+1], s[sgprSrdD+1], 0        // incToNextRow: gra SRD += inc(upper)
buffer_store_byte v240, v11, s[sgprSrdD:sgprSrdD+3], 0, offen, offset:0,  sc0 sc1 // store D
v_cmp_class_f32 s[34:35], v[vgprValuC+241], v10    // check NaN and +/-INF
v_med3_f32 v6, v[vgprValuC+241], v8, v9            // Clipping f32 value if exceeds the limit
v_cndmask_b32 v6, v6, v[vgprValuC+241], s[34:35]   // 
v_cvt_pk_bf8_f32  v241, v6, v6                     // convert f32 accumulated values to fp8
buffer_store_byte v241, v11, s[sgprSrdD:sgprSrdD+3], 0, offen, offset:32,  sc0 sc1 // store D
v_cmp_class_f32 s[34:35], v[vgprValuC+242], v10    // check NaN and +/-INF
v_med3_f32 v6, v[vgprValuC+242], v8, v9            // Clipping f32 value if exceeds the limit
v_cndmask_b32 v6, v6, v[vgprValuC+242], s[34:35]   // 
v_cvt_pk_bf8_f32  v242, v6, v6                     // convert f32 accumulated values to fp8
	;; [unrolled: 5-line block ×8, first 2 shown]
s_lshl_b32  s34, s[sgprStrideD1J], 0               // incToNextRow: Scale by BPE
s_add_u32  s[sgprSrdD+0], s[sgprSrdD+0], s34       // incToNextRow: gra SRD += inc(lower)
s_addc_u32  s[sgprSrdD+1], s[sgprSrdD+1], 0        // incToNextRow: gra SRD += inc(upper)
buffer_store_byte v248, v11, s[sgprSrdD:sgprSrdD+3], 0, offen, offset:0,  sc0 sc1 // store D
v_cmp_class_f32 s[34:35], v[vgprValuC+249], v10    // check NaN and +/-INF
v_med3_f32 v6, v[vgprValuC+249], v8, v9            // Clipping f32 value if exceeds the limit
v_cndmask_b32 v6, v6, v[vgprValuC+249], s[34:35]   // 
v_cvt_pk_bf8_f32  v249, v6, v6                     // convert f32 accumulated values to fp8
buffer_store_byte v249, v11, s[sgprSrdD:sgprSrdD+3], 0, offen, offset:32,  sc0 sc1 // store D
v_cmp_class_f32 s[34:35], v[vgprValuC+250], v10    // check NaN and +/-INF
v_med3_f32 v6, v[vgprValuC+250], v8, v9            // Clipping f32 value if exceeds the limit
v_cndmask_b32 v6, v6, v[vgprValuC+250], s[34:35]   // 
v_cvt_pk_bf8_f32  v250, v6, v6                     // convert f32 accumulated values to fp8
	;; [unrolled: 5-line block ×7, first 2 shown]
buffer_store_byte v255, v11, s[sgprSrdD:sgprSrdD+3], 0, offen, offset:224,  sc0 sc1 // store D
s_nop 0                                            // 1 wait state required when next inst writes vgprs held by previous dwordx4 store inst
/* optSingleColVgpr=1 optSharedColVgpr=0 optSGPRUsage=BufferLoad_Mask optSrdIncForRow=1 */
s_sleep 3 // optimization: sync and wait
s_barrier

/******************************************/
/* Global Write Alpha Batch #1 (d1,d0,vc1,vc0) = */
/*    (7,0,2,0:vw1); (7,1,2,0:vw1); (7,2,2,0:vw1); (7,3,2,0:vw1); (7,4,2,0:vw1); (7,5,2,0:vw1); (7,6,2,0:vw1); (7,7,2,0:vw1); (7,0,3,0:vw1); (7,1,3,0:vw1); (7,2,3,0:vw1); (7,3,3,0:vw1); (7,4,3,0:vw1); (7,5,3,0:vw1); (7,6,3,0:vw1); (7,7,3,0:vw1) */
/******************************************/

/* calc coords, apply mask, and issue loads (if necessary) */
/* (d1,vc1,d0,vc0)=(7,2,0,0) */
/* (d1,vc1,d0,vc0)=(7,2,1,0) */
/* (d1,vc1,d0,vc0)=(7,2,2,0) */
/* (d1,vc1,d0,vc0)=(7,2,3,0) */
/* (d1,vc1,d0,vc0)=(7,2,4,0) */
/* (d1,vc1,d0,vc0)=(7,2,5,0) */
/* (d1,vc1,d0,vc0)=(7,2,6,0) */
/* (d1,vc1,d0,vc0)=(7,2,7,0) */
/* (d1,vc1,d0,vc0)=(7,3,0,0) */
/* (d1,vc1,d0,vc0)=(7,3,1,0) */
/* (d1,vc1,d0,vc0)=(7,3,2,0) */
/* (d1,vc1,d0,vc0)=(7,3,3,0) */
/* (d1,vc1,d0,vc0)=(7,3,4,0) */
/* (d1,vc1,d0,vc0)=(7,3,5,0) */
/* (d1,vc1,d0,vc0)=(7,3,6,0) */
/* (d1,vc1,d0,vc0)=(7,3,7,0) */
v_accvgpr_read_b32 v[vgprValuC+13], acc142 // copy acc to vreg[240]
v_accvgpr_read_b32 v[vgprValuC+14], acc158 // copy acc to vreg[241]
v_accvgpr_read_b32 v[vgprValuC+15], acc174 // copy acc to vreg[242]
v_accvgpr_read_b32 v[vgprValuC+16], acc190 // copy acc to vreg[243]
v_accvgpr_read_b32 v[vgprValuC+17], acc206 // copy acc to vreg[244]
v_accvgpr_read_b32 v[vgprValuC+18], acc222 // copy acc to vreg[245]
v_accvgpr_read_b32 v[vgprValuC+19], acc238 // copy acc to vreg[246]
v_accvgpr_read_b32 v[vgprValuC+20], acc254 // copy acc to vreg[247]
v_accvgpr_read_b32 v[vgprValuC+21], acc143 // copy acc to vreg[248]
v_accvgpr_read_b32 v[vgprValuC+22], acc159 // copy acc to vreg[249]
v_accvgpr_read_b32 v[vgprValuC+23], acc175 // copy acc to vreg[250]
v_accvgpr_read_b32 v[vgprValuC+24], acc191 // copy acc to vreg[251]
v_accvgpr_read_b32 v[vgprValuC+25], acc207 // copy acc to vreg[252]
v_accvgpr_read_b32 v[vgprValuC+26], acc223 // copy acc to vreg[253]
v_accvgpr_read_b32 v[vgprValuC+27], acc239 // copy acc to vreg[254]
v_accvgpr_read_b32 v[vgprValuC+28], acc255 // copy acc to vreg[255]
s_nop 1                                            // 2 wait states required before reading vgpr

/* rC *= alpha batchElements=[(7, 0, 2, 0), (7, 1, 2, 0), (7, 2, 2, 0), (7, 3, 2, 0), (7, 4, 2, 0), (7, 5, 2, 0), (7, 6, 2, 0), (7, 7, 2, 0), (7, 0, 3, 0), (7, 1, 3, 0), (7, 2, 3, 0), (7, 3, 3, 0), (7, 4, 3, 0), (7, 5, 3, 0), (7, 6, 3, 0), (7, 7, 3, 0)] */
v_mul_f32 v[vgprValuC+13], s[sgprAlpha], v[vgprValuC+13] // *= alpha
v_mul_f32 v[vgprValuC+14], s[sgprAlpha], v[vgprValuC+14] // *= alpha
	;; [unrolled: 1-line block ×16, first 2 shown]

/* apply mask, calc new C and issue writes */
v_mov_b32 v10, 0x207                               // flag for Nan and +/- inf
v_mov_b32 v8, 0x47600000                           // save 57344.0f as max for clipping
v_mov_b32 v9, 0xC7600000                           // save -57344`.0f as min for clipping
v_cmp_class_f32 s[34:35], v[vgprValuC+13], v10     // check NaN and +/-INF
v_med3_f32 v6, v[vgprValuC+13], v8, v9             // Clipping f32 value if exceeds the limit
v_cndmask_b32 v6, v6, v[vgprValuC+13], s[34:35]    // 
v_cvt_pk_bf8_f32  v13, v6, v6                      // convert f32 accumulated values to fp8
s_lshl_b32  s34, s[sgprStrideD1J], 0               // incToNextRow: Scale by BPE
s_add_u32  s[sgprSrdD+0], s[sgprSrdD+0], s34       // incToNextRow: gra SRD += inc(lower)
s_addc_u32  s[sgprSrdD+1], s[sgprSrdD+1], 0        // incToNextRow: gra SRD += inc(upper)
buffer_store_byte v13, v11, s[sgprSrdD:sgprSrdD+3], 0, offen, offset:0,  sc0 sc1 // store D
v_cmp_class_f32 s[34:35], v[vgprValuC+14], v10     // check NaN and +/-INF
v_med3_f32 v6, v[vgprValuC+14], v8, v9             // Clipping f32 value if exceeds the limit
v_cndmask_b32 v6, v6, v[vgprValuC+14], s[34:35]    // 
v_cvt_pk_bf8_f32  v14, v6, v6                      // convert f32 accumulated values to fp8
buffer_store_byte v14, v11, s[sgprSrdD:sgprSrdD+3], 0, offen, offset:32,  sc0 sc1 // store D
v_cmp_class_f32 s[34:35], v[vgprValuC+15], v10     // check NaN and +/-INF
v_med3_f32 v6, v[vgprValuC+15], v8, v9             // Clipping f32 value if exceeds the limit
v_cndmask_b32 v6, v6, v[vgprValuC+15], s[34:35]    // 
v_cvt_pk_bf8_f32  v15, v6, v6                      // convert f32 accumulated values to fp8
	;; [unrolled: 5-line block ×8, first 2 shown]
s_lshl_b32  s34, s[sgprStrideD1J], 0               // incToNextRow: Scale by BPE
s_add_u32  s[sgprSrdD+0], s[sgprSrdD+0], s34       // incToNextRow: gra SRD += inc(lower)
s_addc_u32  s[sgprSrdD+1], s[sgprSrdD+1], 0        // incToNextRow: gra SRD += inc(upper)
buffer_store_byte v21, v11, s[sgprSrdD:sgprSrdD+3], 0, offen, offset:0,  sc0 sc1 // store D
v_cmp_class_f32 s[34:35], v[vgprValuC+22], v10     // check NaN and +/-INF
v_med3_f32 v6, v[vgprValuC+22], v8, v9             // Clipping f32 value if exceeds the limit
v_cndmask_b32 v6, v6, v[vgprValuC+22], s[34:35]    // 
v_cvt_pk_bf8_f32  v22, v6, v6                      // convert f32 accumulated values to fp8
buffer_store_byte v22, v11, s[sgprSrdD:sgprSrdD+3], 0, offen, offset:32,  sc0 sc1 // store D
v_cmp_class_f32 s[34:35], v[vgprValuC+23], v10     // check NaN and +/-INF
v_med3_f32 v6, v[vgprValuC+23], v8, v9             // Clipping f32 value if exceeds the limit
v_cndmask_b32 v6, v6, v[vgprValuC+23], s[34:35]    // 
v_cvt_pk_bf8_f32  v23, v6, v6                      // convert f32 accumulated values to fp8
	;; [unrolled: 5-line block ×7, first 2 shown]
buffer_store_byte v28, v11, s[sgprSrdD:sgprSrdD+3], 0, offen, offset:224,  sc0 sc1 // store D
s_nop 0                                            // 1 wait state required when next inst writes vgprs held by previous dwordx4 store inst
s_branch label_GW_End_42                           // jump to end
GW_B0_E1_34:

/* edge=1, allocate 6 sgpr. perBatchTmpS=4 perBatchMaskS=2 perElementMaskS=0 elementsPerBatch=120 */
/* optSingleColVgpr=0 optSharedColVgpr=0 optSGPRUsage=BufferLoad_Edge_Mask optSrdIncForRow=0 */
s_sleep 3 // optimization: sync and wait
s_barrier

/******************************************/
/* Global Write Alpha Edge Batch #0 (d1,d0,vc1,vc0) = */
/*    (0,0,0,0:vw1); (0,1,0,0:vw1); (0,2,0,0:vw1); (0,3,0,0:vw1); (0,4,0,0:vw1); (0,5,0,0:vw1); (0,6,0,0:vw1); (0,7,0,0:vw1); (0,0,1,0:vw1); (0,1,1,0:vw1); (0,2,1,0:vw1); (0,3,1,0:vw1); (0,4,1,0:vw1); (0,5,1,0:vw1); (0,6,1,0:vw1); (0,7,1,0:vw1); (0,0,2,0:vw1); (0,1,2,0:vw1); (0,2,2,0:vw1); (0,3,2,0:vw1); (0,4,2,0:vw1); (0,5,2,0:vw1); (0,6,2,0:vw1); (0,7,2,0:vw1); (0,0,3,0:vw1); (0,1,3,0:vw1); (0,2,3,0:vw1); (0,3,3,0:vw1); (0,4,3,0:vw1); (0,5,3,0:vw1); (0,6,3,0:vw1); (0,7,3,0:vw1); (1,0,0,0:vw1); (1,1,0,0:vw1); (1,2,0,0:vw1); (1,3,0,0:vw1); (1,4,0,0:vw1); (1,5,0,0:vw1); (1,6,0,0:vw1); (1,7,0,0:vw1); (1,0,1,0:vw1); (1,1,1,0:vw1); (1,2,1,0:vw1); (1,3,1,0:vw1); (1,4,1,0:vw1); (1,5,1,0:vw1); (1,6,1,0:vw1); (1,7,1,0:vw1); (1,0,2,0:vw1); (1,1,2,0:vw1); (1,2,2,0:vw1); (1,3,2,0:vw1); (1,4,2,0:vw1); (1,5,2,0:vw1); (1,6,2,0:vw1); (1,7,2,0:vw1); (1,0,3,0:vw1); (1,1,3,0:vw1); (1,2,3,0:vw1); (1,3,3,0:vw1); (1,4,3,0:vw1); (1,5,3,0:vw1); (1,6,3,0:vw1); (1,7,3,0:vw1); (2,0,0,0:vw1); (2,1,0,0:vw1); (2,2,0,0:vw1); (2,3,0,0:vw1); (2,4,0,0:vw1); (2,5,0,0:vw1); (2,6,0,0:vw1); (2,7,0,0:vw1); (2,0,1,0:vw1); (2,1,1,0:vw1); (2,2,1,0:vw1); (2,3,1,0:vw1); (2,4,1,0:vw1); (2,5,1,0:vw1); (2,6,1,0:vw1); (2,7,1,0:vw1); (2,0,2,0:vw1); (2,1,2,0:vw1); (2,2,2,0:vw1); (2,3,2,0:vw1); (2,4,2,0:vw1); (2,5,2,0:vw1); (2,6,2,0:vw1); (2,7,2,0:vw1); (2,0,3,0:vw1); (2,1,3,0:vw1); (2,2,3,0:vw1); (2,3,3,0:vw1); (2,4,3,0:vw1); (2,5,3,0:vw1); (2,6,3,0:vw1); (2,7,3,0:vw1); (3,0,0,0:vw1); (3,1,0,0:vw1); (3,2,0,0:vw1); (3,3,0,0:vw1); (3,4,0,0:vw1); (3,5,0,0:vw1); (3,6,0,0:vw1); (3,7,0,0:vw1); (3,0,1,0:vw1); (3,1,1,0:vw1); (3,2,1,0:vw1); (3,3,1,0:vw1); (3,4,1,0:vw1); (3,5,1,0:vw1); (3,6,1,0:vw1); (3,7,1,0:vw1); (3,0,2,0:vw1); (3,1,2,0:vw1); (3,2,2,0:vw1); (3,3,2,0:vw1); (3,4,2,0:vw1); (3,5,2,0:vw1); (3,6,2,0:vw1); (3,7,2,0:vw1) */
/******************************************/

/* calc coords, apply mask, and issue loads (if necessary) */
/* (d1,vc1,d0,vc0)=(0,0,0,0) */
v_cmp_lt_u32 s[52:53], v0, s[sgprSizeI]            // coord0 < size0
v_cmp_lt_u32 s[56:57], v1, s[sgprSizeJ]            // coord1 < size1
s_and_b64 s[56:57], s[52:53], s[56:57]             // in0 && in1
_v_add_lshl_u32 v11, v3, v0, 0x0                   // scaleToBpe: accumulate d0 lower and *= bpe into Cin addr
v_cndmask_b32 v11, -1, v11, s[56:57]               // LDD clip if OOB. offset
/* (d1,vc1,d0,vc0)=(0,0,1,0) */
_v_add_co_u32 v4, vcc, v0, 32                      // coord0.1: coord0 += d0*sg0*VW + vc0
v_cmp_lt_u32 s[52:53], v4, s[sgprSizeI]            // coord0 < size0
v_cmp_lt_u32 s[56:57], v1, s[sgprSizeJ]            // coord1 < size1
s_and_b64 s[56:57], s[52:53], s[56:57]             // in0 && in1
_v_add_lshl_u32 v13, v3, v4, 0x0                   // scaleToBpe: accumulate d0 lower and *= bpe into Cin addr
v_cndmask_b32 v13, -1, v13, s[56:57]               // LDD clip if OOB. offset
/* (d1,vc1,d0,vc0)=(0,0,2,0) */
_v_add_co_u32 v4, vcc, v0, 64                      // coord0.1: coord0 += d0*sg0*VW + vc0
v_cmp_lt_u32 s[52:53], v4, s[sgprSizeI]            // coord0 < size0
v_cmp_lt_u32 s[56:57], v1, s[sgprSizeJ]            // coord1 < size1
s_and_b64 s[56:57], s[52:53], s[56:57]             // in0 && in1
_v_add_lshl_u32 v15, v3, v4, 0x0                   // scaleToBpe: accumulate d0 lower and *= bpe into Cin addr
v_cndmask_b32 v15, -1, v15, s[56:57]               // LDD clip if OOB. offset
/* (d1,vc1,d0,vc0)=(0,0,3,0) */
s_mov_b32 s52, 96                                  // coordOffset0 d0=3 vc0=0
_v_add_co_u32 v4, vcc, v0, s52                     // coord0.2: coord0 += d0*sg0*VW + vc0
v_cmp_lt_u32 s[52:53], v4, s[sgprSizeI]            // coord0 < size0
v_cmp_lt_u32 s[56:57], v1, s[sgprSizeJ]            // coord1 < size1
s_and_b64 s[56:57], s[52:53], s[56:57]             // in0 && in1
_v_add_lshl_u32 v17, v3, v4, 0x0                   // scaleToBpe: accumulate d0 lower and *= bpe into Cin addr
v_cndmask_b32 v17, -1, v17, s[56:57]               // LDD clip if OOB. offset
/* (d1,vc1,d0,vc0)=(0,0,4,0) */
s_mov_b32 s52, 128                                 // coordOffset0 d0=4 vc0=0
_v_add_co_u32 v4, vcc, v0, s52                     // coord0.2: coord0 += d0*sg0*VW + vc0
v_cmp_lt_u32 s[52:53], v4, s[sgprSizeI]            // coord0 < size0
v_cmp_lt_u32 s[56:57], v1, s[sgprSizeJ]            // coord1 < size1
s_and_b64 s[56:57], s[52:53], s[56:57]             // in0 && in1
_v_add_lshl_u32 v19, v3, v4, 0x0                   // scaleToBpe: accumulate d0 lower and *= bpe into Cin addr
v_cndmask_b32 v19, -1, v19, s[56:57]               // LDD clip if OOB. offset
/* (d1,vc1,d0,vc0)=(0,0,5,0) */
s_mov_b32 s52, 160                                 // coordOffset0 d0=5 vc0=0
	;; [unrolled: 8-line block ×4, first 2 shown]
_v_add_co_u32 v4, vcc, v0, s52                     // coord0.2: coord0 += d0*sg0*VW + vc0
v_cmp_lt_u32 s[52:53], v4, s[sgprSizeI]            // coord0 < size0
v_cmp_lt_u32 s[56:57], v1, s[sgprSizeJ]            // coord1 < size1
s_and_b64 s[56:57], s[52:53], s[56:57]             // in0 && in1
_v_add_lshl_u32 v25, v3, v4, 0x0                   // scaleToBpe: accumulate d0 lower and *= bpe into Cin addr
v_cndmask_b32 v25, -1, v25, s[56:57]               // LDD clip if OOB. offset
/* (d1,vc1,d0,vc0)=(0,1,0,0) */
_v_add_co_u32 v1, vcc, v1, 1                       // coord1.1: coord1Vgpr += d1*sg1*VW + vc1

/* Fix for UseInitialStridesCD, emitAddressSetupCode */
_v_add_u32 v2, v2, s[sgprStrideC1J]                // ROWINC- Move cinRowPtr to next row
_v_add_u32 v3, v3, s[sgprStrideD1J]                // Move coutRowPtr to next row
v_cmp_lt_u32 s[52:53], v0, s[sgprSizeI]            // coord0 < size0
v_cmp_lt_u32 s[56:57], v1, s[sgprSizeJ]            // coord1 < size1
s_and_b64 s[56:57], s[52:53], s[56:57]             // in0 && in1
_v_add_lshl_u32 v27, v3, v0, 0x0                   // scaleToBpe: accumulate d0 lower and *= bpe into Cin addr
v_cndmask_b32 v27, -1, v27, s[56:57]               // LDD clip if OOB. offset
/* (d1,vc1,d0,vc0)=(0,1,1,0) */
_v_add_co_u32 v4, vcc, v0, 32                      // coord0.1: coord0 += d0*sg0*VW + vc0
v_cmp_lt_u32 s[52:53], v4, s[sgprSizeI]            // coord0 < size0
v_cmp_lt_u32 s[56:57], v1, s[sgprSizeJ]            // coord1 < size1
s_and_b64 s[56:57], s[52:53], s[56:57]             // in0 && in1
_v_add_lshl_u32 v29, v3, v4, 0x0                   // scaleToBpe: accumulate d0 lower and *= bpe into Cin addr
v_cndmask_b32 v29, -1, v29, s[56:57]               // LDD clip if OOB. offset
/* (d1,vc1,d0,vc0)=(0,1,2,0) */
_v_add_co_u32 v4, vcc, v0, 64                      // coord0.1: coord0 += d0*sg0*VW + vc0
v_cmp_lt_u32 s[52:53], v4, s[sgprSizeI]            // coord0 < size0
v_cmp_lt_u32 s[56:57], v1, s[sgprSizeJ]            // coord1 < size1
s_and_b64 s[56:57], s[52:53], s[56:57]             // in0 && in1
_v_add_lshl_u32 v31, v3, v4, 0x0                   // scaleToBpe: accumulate d0 lower and *= bpe into Cin addr
v_cndmask_b32 v31, -1, v31, s[56:57]               // LDD clip if OOB. offset
/* (d1,vc1,d0,vc0)=(0,1,3,0) */
s_mov_b32 s52, 96                                  // coordOffset0 d0=3 vc0=0
_v_add_co_u32 v4, vcc, v0, s52                     // coord0.2: coord0 += d0*sg0*VW + vc0
v_cmp_lt_u32 s[52:53], v4, s[sgprSizeI]            // coord0 < size0
v_cmp_lt_u32 s[56:57], v1, s[sgprSizeJ]            // coord1 < size1
s_and_b64 s[56:57], s[52:53], s[56:57]             // in0 && in1
_v_add_lshl_u32 v33, v3, v4, 0x0                   // scaleToBpe: accumulate d0 lower and *= bpe into Cin addr
v_cndmask_b32 v33, -1, v33, s[56:57]               // LDD clip if OOB. offset
/* (d1,vc1,d0,vc0)=(0,1,4,0) */
s_mov_b32 s52, 128                                 // coordOffset0 d0=4 vc0=0
_v_add_co_u32 v4, vcc, v0, s52                     // coord0.2: coord0 += d0*sg0*VW + vc0
v_cmp_lt_u32 s[52:53], v4, s[sgprSizeI]            // coord0 < size0
v_cmp_lt_u32 s[56:57], v1, s[sgprSizeJ]            // coord1 < size1
s_and_b64 s[56:57], s[52:53], s[56:57]             // in0 && in1
_v_add_lshl_u32 v35, v3, v4, 0x0                   // scaleToBpe: accumulate d0 lower and *= bpe into Cin addr
v_cndmask_b32 v35, -1, v35, s[56:57]               // LDD clip if OOB. offset
/* (d1,vc1,d0,vc0)=(0,1,5,0) */
s_mov_b32 s52, 160                                 // coordOffset0 d0=5 vc0=0
	;; [unrolled: 8-line block ×4, first 2 shown]
_v_add_co_u32 v4, vcc, v0, s52                     // coord0.2: coord0 += d0*sg0*VW + vc0
v_cmp_lt_u32 s[52:53], v4, s[sgprSizeI]            // coord0 < size0
v_cmp_lt_u32 s[56:57], v1, s[sgprSizeJ]            // coord1 < size1
s_and_b64 s[56:57], s[52:53], s[56:57]             // in0 && in1
_v_add_lshl_u32 v41, v3, v4, 0x0                   // scaleToBpe: accumulate d0 lower and *= bpe into Cin addr
v_cndmask_b32 v41, -1, v41, s[56:57]               // LDD clip if OOB. offset
/* (d1,vc1,d0,vc0)=(0,2,0,0) */
_v_add_co_u32 v1, vcc, v1, 1                       // coord1.1: coord1Vgpr += d1*sg1*VW + vc1

/* Fix for UseInitialStridesCD, emitAddressSetupCode */
_v_add_u32 v2, v2, s[sgprStrideC1J]                // ROWINC- Move cinRowPtr to next row
_v_add_u32 v3, v3, s[sgprStrideD1J]                // Move coutRowPtr to next row
v_cmp_lt_u32 s[52:53], v0, s[sgprSizeI]            // coord0 < size0
v_cmp_lt_u32 s[56:57], v1, s[sgprSizeJ]            // coord1 < size1
s_and_b64 s[56:57], s[52:53], s[56:57]             // in0 && in1
_v_add_lshl_u32 v43, v3, v0, 0x0                   // scaleToBpe: accumulate d0 lower and *= bpe into Cin addr
v_cndmask_b32 v43, -1, v43, s[56:57]               // LDD clip if OOB. offset
/* (d1,vc1,d0,vc0)=(0,2,1,0) */
_v_add_co_u32 v4, vcc, v0, 32                      // coord0.1: coord0 += d0*sg0*VW + vc0
v_cmp_lt_u32 s[52:53], v4, s[sgprSizeI]            // coord0 < size0
v_cmp_lt_u32 s[56:57], v1, s[sgprSizeJ]            // coord1 < size1
s_and_b64 s[56:57], s[52:53], s[56:57]             // in0 && in1
_v_add_lshl_u32 v45, v3, v4, 0x0                   // scaleToBpe: accumulate d0 lower and *= bpe into Cin addr
v_cndmask_b32 v45, -1, v45, s[56:57]               // LDD clip if OOB. offset
/* (d1,vc1,d0,vc0)=(0,2,2,0) */
_v_add_co_u32 v4, vcc, v0, 64                      // coord0.1: coord0 += d0*sg0*VW + vc0
v_cmp_lt_u32 s[52:53], v4, s[sgprSizeI]            // coord0 < size0
v_cmp_lt_u32 s[56:57], v1, s[sgprSizeJ]            // coord1 < size1
s_and_b64 s[56:57], s[52:53], s[56:57]             // in0 && in1
_v_add_lshl_u32 v47, v3, v4, 0x0                   // scaleToBpe: accumulate d0 lower and *= bpe into Cin addr
v_cndmask_b32 v47, -1, v47, s[56:57]               // LDD clip if OOB. offset
/* (d1,vc1,d0,vc0)=(0,2,3,0) */
s_mov_b32 s52, 96                                  // coordOffset0 d0=3 vc0=0
_v_add_co_u32 v4, vcc, v0, s52                     // coord0.2: coord0 += d0*sg0*VW + vc0
v_cmp_lt_u32 s[52:53], v4, s[sgprSizeI]            // coord0 < size0
v_cmp_lt_u32 s[56:57], v1, s[sgprSizeJ]            // coord1 < size1
s_and_b64 s[56:57], s[52:53], s[56:57]             // in0 && in1
_v_add_lshl_u32 v49, v3, v4, 0x0                   // scaleToBpe: accumulate d0 lower and *= bpe into Cin addr
v_cndmask_b32 v49, -1, v49, s[56:57]               // LDD clip if OOB. offset
/* (d1,vc1,d0,vc0)=(0,2,4,0) */
s_mov_b32 s52, 128                                 // coordOffset0 d0=4 vc0=0
_v_add_co_u32 v4, vcc, v0, s52                     // coord0.2: coord0 += d0*sg0*VW + vc0
v_cmp_lt_u32 s[52:53], v4, s[sgprSizeI]            // coord0 < size0
v_cmp_lt_u32 s[56:57], v1, s[sgprSizeJ]            // coord1 < size1
s_and_b64 s[56:57], s[52:53], s[56:57]             // in0 && in1
_v_add_lshl_u32 v51, v3, v4, 0x0                   // scaleToBpe: accumulate d0 lower and *= bpe into Cin addr
v_cndmask_b32 v51, -1, v51, s[56:57]               // LDD clip if OOB. offset
/* (d1,vc1,d0,vc0)=(0,2,5,0) */
s_mov_b32 s52, 160                                 // coordOffset0 d0=5 vc0=0
	;; [unrolled: 8-line block ×4, first 2 shown]
_v_add_co_u32 v4, vcc, v0, s52                     // coord0.2: coord0 += d0*sg0*VW + vc0
v_cmp_lt_u32 s[52:53], v4, s[sgprSizeI]            // coord0 < size0
v_cmp_lt_u32 s[56:57], v1, s[sgprSizeJ]            // coord1 < size1
s_and_b64 s[56:57], s[52:53], s[56:57]             // in0 && in1
_v_add_lshl_u32 v57, v3, v4, 0x0                   // scaleToBpe: accumulate d0 lower and *= bpe into Cin addr
v_cndmask_b32 v57, -1, v57, s[56:57]               // LDD clip if OOB. offset
/* (d1,vc1,d0,vc0)=(0,3,0,0) */
_v_add_co_u32 v1, vcc, v1, 1                       // coord1.1: coord1Vgpr += d1*sg1*VW + vc1

/* Fix for UseInitialStridesCD, emitAddressSetupCode */
_v_add_u32 v2, v2, s[sgprStrideC1J]                // ROWINC- Move cinRowPtr to next row
_v_add_u32 v3, v3, s[sgprStrideD1J]                // Move coutRowPtr to next row
v_cmp_lt_u32 s[52:53], v0, s[sgprSizeI]            // coord0 < size0
v_cmp_lt_u32 s[56:57], v1, s[sgprSizeJ]            // coord1 < size1
s_and_b64 s[56:57], s[52:53], s[56:57]             // in0 && in1
_v_add_lshl_u32 v59, v3, v0, 0x0                   // scaleToBpe: accumulate d0 lower and *= bpe into Cin addr
v_cndmask_b32 v59, -1, v59, s[56:57]               // LDD clip if OOB. offset
/* (d1,vc1,d0,vc0)=(0,3,1,0) */
_v_add_co_u32 v4, vcc, v0, 32                      // coord0.1: coord0 += d0*sg0*VW + vc0
v_cmp_lt_u32 s[52:53], v4, s[sgprSizeI]            // coord0 < size0
v_cmp_lt_u32 s[56:57], v1, s[sgprSizeJ]            // coord1 < size1
s_and_b64 s[56:57], s[52:53], s[56:57]             // in0 && in1
_v_add_lshl_u32 v61, v3, v4, 0x0                   // scaleToBpe: accumulate d0 lower and *= bpe into Cin addr
v_cndmask_b32 v61, -1, v61, s[56:57]               // LDD clip if OOB. offset
/* (d1,vc1,d0,vc0)=(0,3,2,0) */
_v_add_co_u32 v4, vcc, v0, 64                      // coord0.1: coord0 += d0*sg0*VW + vc0
v_cmp_lt_u32 s[52:53], v4, s[sgprSizeI]            // coord0 < size0
v_cmp_lt_u32 s[56:57], v1, s[sgprSizeJ]            // coord1 < size1
s_and_b64 s[56:57], s[52:53], s[56:57]             // in0 && in1
_v_add_lshl_u32 v63, v3, v4, 0x0                   // scaleToBpe: accumulate d0 lower and *= bpe into Cin addr
v_cndmask_b32 v63, -1, v63, s[56:57]               // LDD clip if OOB. offset
/* (d1,vc1,d0,vc0)=(0,3,3,0) */
s_mov_b32 s52, 96                                  // coordOffset0 d0=3 vc0=0
_v_add_co_u32 v4, vcc, v0, s52                     // coord0.2: coord0 += d0*sg0*VW + vc0
v_cmp_lt_u32 s[52:53], v4, s[sgprSizeI]            // coord0 < size0
v_cmp_lt_u32 s[56:57], v1, s[sgprSizeJ]            // coord1 < size1
s_and_b64 s[56:57], s[52:53], s[56:57]             // in0 && in1
_v_add_lshl_u32 v65, v3, v4, 0x0                   // scaleToBpe: accumulate d0 lower and *= bpe into Cin addr
v_cndmask_b32 v65, -1, v65, s[56:57]               // LDD clip if OOB. offset
/* (d1,vc1,d0,vc0)=(0,3,4,0) */
s_mov_b32 s52, 128                                 // coordOffset0 d0=4 vc0=0
_v_add_co_u32 v4, vcc, v0, s52                     // coord0.2: coord0 += d0*sg0*VW + vc0
v_cmp_lt_u32 s[52:53], v4, s[sgprSizeI]            // coord0 < size0
v_cmp_lt_u32 s[56:57], v1, s[sgprSizeJ]            // coord1 < size1
s_and_b64 s[56:57], s[52:53], s[56:57]             // in0 && in1
_v_add_lshl_u32 v67, v3, v4, 0x0                   // scaleToBpe: accumulate d0 lower and *= bpe into Cin addr
v_cndmask_b32 v67, -1, v67, s[56:57]               // LDD clip if OOB. offset
/* (d1,vc1,d0,vc0)=(0,3,5,0) */
s_mov_b32 s52, 160                                 // coordOffset0 d0=5 vc0=0
	;; [unrolled: 8-line block ×4, first 2 shown]
_v_add_co_u32 v4, vcc, v0, s52                     // coord0.2: coord0 += d0*sg0*VW + vc0
v_cmp_lt_u32 s[52:53], v4, s[sgprSizeI]            // coord0 < size0
v_cmp_lt_u32 s[56:57], v1, s[sgprSizeJ]            // coord1 < size1
s_and_b64 s[56:57], s[52:53], s[56:57]             // in0 && in1
_v_add_lshl_u32 v73, v3, v4, 0x0                   // scaleToBpe: accumulate d0 lower and *= bpe into Cin addr
v_cndmask_b32 v73, -1, v73, s[56:57]               // LDD clip if OOB. offset
/* (d1,vc1,d0,vc0)=(1,0,0,0) */
_v_add_co_u32 v1, vcc, v1, 5                       // coord1.1: coord1Vgpr += d1*sg1*VW + vc1

/* Fix for UseInitialStridesCD, emitAddressSetupCode */
s_mul_i32 s52, s[sgprStrideC1J], 5                 // scale stride
_v_add_u32 v2, v2, s52                             // ROWINC- Move cinRowPtr to next row
s_mul_i32 s52, s[sgprStrideD1J], 5                 // scale stride
_v_add_u32 v3, v3, s52                             // Move coutRowPtr to next row
v_cmp_lt_u32 s[52:53], v0, s[sgprSizeI]            // coord0 < size0
v_cmp_lt_u32 s[56:57], v1, s[sgprSizeJ]            // coord1 < size1
s_and_b64 s[56:57], s[52:53], s[56:57]             // in0 && in1
_v_add_lshl_u32 v75, v3, v0, 0x0                   // scaleToBpe: accumulate d0 lower and *= bpe into Cin addr
v_cndmask_b32 v75, -1, v75, s[56:57]               // LDD clip if OOB. offset
/* (d1,vc1,d0,vc0)=(1,0,1,0) */
_v_add_co_u32 v4, vcc, v0, 32                      // coord0.1: coord0 += d0*sg0*VW + vc0
v_cmp_lt_u32 s[52:53], v4, s[sgprSizeI]            // coord0 < size0
v_cmp_lt_u32 s[56:57], v1, s[sgprSizeJ]            // coord1 < size1
s_and_b64 s[56:57], s[52:53], s[56:57]             // in0 && in1
_v_add_lshl_u32 v77, v3, v4, 0x0                   // scaleToBpe: accumulate d0 lower and *= bpe into Cin addr
v_cndmask_b32 v77, -1, v77, s[56:57]               // LDD clip if OOB. offset
/* (d1,vc1,d0,vc0)=(1,0,2,0) */
_v_add_co_u32 v4, vcc, v0, 64                      // coord0.1: coord0 += d0*sg0*VW + vc0
v_cmp_lt_u32 s[52:53], v4, s[sgprSizeI]            // coord0 < size0
v_cmp_lt_u32 s[56:57], v1, s[sgprSizeJ]            // coord1 < size1
s_and_b64 s[56:57], s[52:53], s[56:57]             // in0 && in1
_v_add_lshl_u32 v79, v3, v4, 0x0                   // scaleToBpe: accumulate d0 lower and *= bpe into Cin addr
v_cndmask_b32 v79, -1, v79, s[56:57]               // LDD clip if OOB. offset
/* (d1,vc1,d0,vc0)=(1,0,3,0) */
s_mov_b32 s52, 96                                  // coordOffset0 d0=3 vc0=0
_v_add_co_u32 v4, vcc, v0, s52                     // coord0.2: coord0 += d0*sg0*VW + vc0
v_cmp_lt_u32 s[52:53], v4, s[sgprSizeI]            // coord0 < size0
v_cmp_lt_u32 s[56:57], v1, s[sgprSizeJ]            // coord1 < size1
s_and_b64 s[56:57], s[52:53], s[56:57]             // in0 && in1
_v_add_lshl_u32 v81, v3, v4, 0x0                   // scaleToBpe: accumulate d0 lower and *= bpe into Cin addr
v_cndmask_b32 v81, -1, v81, s[56:57]               // LDD clip if OOB. offset
/* (d1,vc1,d0,vc0)=(1,0,4,0) */
s_mov_b32 s52, 128                                 // coordOffset0 d0=4 vc0=0
_v_add_co_u32 v4, vcc, v0, s52                     // coord0.2: coord0 += d0*sg0*VW + vc0
v_cmp_lt_u32 s[52:53], v4, s[sgprSizeI]            // coord0 < size0
v_cmp_lt_u32 s[56:57], v1, s[sgprSizeJ]            // coord1 < size1
s_and_b64 s[56:57], s[52:53], s[56:57]             // in0 && in1
_v_add_lshl_u32 v83, v3, v4, 0x0                   // scaleToBpe: accumulate d0 lower and *= bpe into Cin addr
v_cndmask_b32 v83, -1, v83, s[56:57]               // LDD clip if OOB. offset
/* (d1,vc1,d0,vc0)=(1,0,5,0) */
s_mov_b32 s52, 160                                 // coordOffset0 d0=5 vc0=0
_v_add_co_u32 v4, vcc, v0, s52                     // coord0.2: coord0 += d0*sg0*VW + vc0
v_cmp_lt_u32 s[52:53], v4, s[sgprSizeI]            // coord0 < size0
v_cmp_lt_u32 s[56:57], v1, s[sgprSizeJ]            // coord1 < size1
s_and_b64 s[56:57], s[52:53], s[56:57]             // in0 && in1
_v_add_lshl_u32 v85, v3, v4, 0x0                   // scaleToBpe: accumulate d0 lower and *= bpe into Cin addr
v_cndmask_b32 v85, -1, v85, s[56:57]               // LDD clip if OOB. offset
/* (d1,vc1,d0,vc0)=(1,0,6,0) */
s_mov_b32 s52, 192                                 // coordOffset0 d0=6 vc0=0
_v_add_co_u32 v4, vcc, v0, s52                     // coord0.2: coord0 += d0*sg0*VW + vc0
v_cmp_lt_u32 s[52:53], v4, s[sgprSizeI]            // coord0 < size0
v_cmp_lt_u32 s[56:57], v1, s[sgprSizeJ]            // coord1 < size1
s_and_b64 s[56:57], s[52:53], s[56:57]             // in0 && in1
_v_add_lshl_u32 v87, v3, v4, 0x0                   // scaleToBpe: accumulate d0 lower and *= bpe into Cin addr
v_cndmask_b32 v87, -1, v87, s[56:57]               // LDD clip if OOB. offset
/* (d1,vc1,d0,vc0)=(1,0,7,0) */
s_mov_b32 s52, 224                                 // coordOffset0 d0=7 vc0=0
_v_add_co_u32 v4, vcc, v0, s52                     // coord0.2: coord0 += d0*sg0*VW + vc0
v_cmp_lt_u32 s[52:53], v4, s[sgprSizeI]            // coord0 < size0
v_cmp_lt_u32 s[56:57], v1, s[sgprSizeJ]            // coord1 < size1
s_and_b64 s[56:57], s[52:53], s[56:57]             // in0 && in1
_v_add_lshl_u32 v89, v3, v4, 0x0                   // scaleToBpe: accumulate d0 lower and *= bpe into Cin addr
v_cndmask_b32 v89, -1, v89, s[56:57]               // LDD clip if OOB. offset
/* (d1,vc1,d0,vc0)=(1,1,0,0) */
_v_add_co_u32 v1, vcc, v1, 1                       // coord1.1: coord1Vgpr += d1*sg1*VW + vc1

/* Fix for UseInitialStridesCD, emitAddressSetupCode */
_v_add_u32 v2, v2, s[sgprStrideC1J]                // ROWINC- Move cinRowPtr to next row
_v_add_u32 v3, v3, s[sgprStrideD1J]                // Move coutRowPtr to next row
v_cmp_lt_u32 s[52:53], v0, s[sgprSizeI]            // coord0 < size0
v_cmp_lt_u32 s[56:57], v1, s[sgprSizeJ]            // coord1 < size1
s_and_b64 s[56:57], s[52:53], s[56:57]             // in0 && in1
_v_add_lshl_u32 v91, v3, v0, 0x0                   // scaleToBpe: accumulate d0 lower and *= bpe into Cin addr
v_cndmask_b32 v91, -1, v91, s[56:57]               // LDD clip if OOB. offset
/* (d1,vc1,d0,vc0)=(1,1,1,0) */
_v_add_co_u32 v4, vcc, v0, 32                      // coord0.1: coord0 += d0*sg0*VW + vc0
v_cmp_lt_u32 s[52:53], v4, s[sgprSizeI]            // coord0 < size0
v_cmp_lt_u32 s[56:57], v1, s[sgprSizeJ]            // coord1 < size1
s_and_b64 s[56:57], s[52:53], s[56:57]             // in0 && in1
_v_add_lshl_u32 v93, v3, v4, 0x0                   // scaleToBpe: accumulate d0 lower and *= bpe into Cin addr
v_cndmask_b32 v93, -1, v93, s[56:57]               // LDD clip if OOB. offset
/* (d1,vc1,d0,vc0)=(1,1,2,0) */
_v_add_co_u32 v4, vcc, v0, 64                      // coord0.1: coord0 += d0*sg0*VW + vc0
v_cmp_lt_u32 s[52:53], v4, s[sgprSizeI]            // coord0 < size0
v_cmp_lt_u32 s[56:57], v1, s[sgprSizeJ]            // coord1 < size1
s_and_b64 s[56:57], s[52:53], s[56:57]             // in0 && in1
_v_add_lshl_u32 v95, v3, v4, 0x0                   // scaleToBpe: accumulate d0 lower and *= bpe into Cin addr
v_cndmask_b32 v95, -1, v95, s[56:57]               // LDD clip if OOB. offset
/* (d1,vc1,d0,vc0)=(1,1,3,0) */
s_mov_b32 s52, 96                                  // coordOffset0 d0=3 vc0=0
_v_add_co_u32 v4, vcc, v0, s52                     // coord0.2: coord0 += d0*sg0*VW + vc0
v_cmp_lt_u32 s[52:53], v4, s[sgprSizeI]            // coord0 < size0
v_cmp_lt_u32 s[56:57], v1, s[sgprSizeJ]            // coord1 < size1
s_and_b64 s[56:57], s[52:53], s[56:57]             // in0 && in1
_v_add_lshl_u32 v97, v3, v4, 0x0                   // scaleToBpe: accumulate d0 lower and *= bpe into Cin addr
v_cndmask_b32 v97, -1, v97, s[56:57]               // LDD clip if OOB. offset
/* (d1,vc1,d0,vc0)=(1,1,4,0) */
s_mov_b32 s52, 128                                 // coordOffset0 d0=4 vc0=0
_v_add_co_u32 v4, vcc, v0, s52                     // coord0.2: coord0 += d0*sg0*VW + vc0
v_cmp_lt_u32 s[52:53], v4, s[sgprSizeI]            // coord0 < size0
v_cmp_lt_u32 s[56:57], v1, s[sgprSizeJ]            // coord1 < size1
s_and_b64 s[56:57], s[52:53], s[56:57]             // in0 && in1
_v_add_lshl_u32 v99, v3, v4, 0x0                   // scaleToBpe: accumulate d0 lower and *= bpe into Cin addr
v_cndmask_b32 v99, -1, v99, s[56:57]               // LDD clip if OOB. offset
/* (d1,vc1,d0,vc0)=(1,1,5,0) */
s_mov_b32 s52, 160                                 // coordOffset0 d0=5 vc0=0
_v_add_co_u32 v4, vcc, v0, s52                     // coord0.2: coord0 += d0*sg0*VW + vc0
v_cmp_lt_u32 s[52:53], v4, s[sgprSizeI]            // coord0 < size0
v_cmp_lt_u32 s[56:57], v1, s[sgprSizeJ]            // coord1 < size1
s_and_b64 s[56:57], s[52:53], s[56:57]             // in0 && in1
_v_add_lshl_u32 v101, v3, v4, 0x0                  // scaleToBpe: accumulate d0 lower and *= bpe into Cin addr
v_cndmask_b32 v101, -1, v101, s[56:57]             // LDD clip if OOB. offset
/* (d1,vc1,d0,vc0)=(1,1,6,0) */
s_mov_b32 s52, 192                                 // coordOffset0 d0=6 vc0=0
_v_add_co_u32 v4, vcc, v0, s52                     // coord0.2: coord0 += d0*sg0*VW + vc0
v_cmp_lt_u32 s[52:53], v4, s[sgprSizeI]            // coord0 < size0
v_cmp_lt_u32 s[56:57], v1, s[sgprSizeJ]            // coord1 < size1
s_and_b64 s[56:57], s[52:53], s[56:57]             // in0 && in1
_v_add_lshl_u32 v103, v3, v4, 0x0                  // scaleToBpe: accumulate d0 lower and *= bpe into Cin addr
v_cndmask_b32 v103, -1, v103, s[56:57]             // LDD clip if OOB. offset
	;; [unrolled: 8-line block ×3, first 2 shown]
/* (d1,vc1,d0,vc0)=(1,2,0,0) */
_v_add_co_u32 v1, vcc, v1, 1                       // coord1.1: coord1Vgpr += d1*sg1*VW + vc1

/* Fix for UseInitialStridesCD, emitAddressSetupCode */
_v_add_u32 v2, v2, s[sgprStrideC1J]                // ROWINC- Move cinRowPtr to next row
_v_add_u32 v3, v3, s[sgprStrideD1J]                // Move coutRowPtr to next row
v_cmp_lt_u32 s[52:53], v0, s[sgprSizeI]            // coord0 < size0
v_cmp_lt_u32 s[56:57], v1, s[sgprSizeJ]            // coord1 < size1
s_and_b64 s[56:57], s[52:53], s[56:57]             // in0 && in1
_v_add_lshl_u32 v107, v3, v0, 0x0                  // scaleToBpe: accumulate d0 lower and *= bpe into Cin addr
v_cndmask_b32 v107, -1, v107, s[56:57]             // LDD clip if OOB. offset
/* (d1,vc1,d0,vc0)=(1,2,1,0) */
_v_add_co_u32 v4, vcc, v0, 32                      // coord0.1: coord0 += d0*sg0*VW + vc0
v_cmp_lt_u32 s[52:53], v4, s[sgprSizeI]            // coord0 < size0
v_cmp_lt_u32 s[56:57], v1, s[sgprSizeJ]            // coord1 < size1
s_and_b64 s[56:57], s[52:53], s[56:57]             // in0 && in1
_v_add_lshl_u32 v109, v3, v4, 0x0                  // scaleToBpe: accumulate d0 lower and *= bpe into Cin addr
v_cndmask_b32 v109, -1, v109, s[56:57]             // LDD clip if OOB. offset
/* (d1,vc1,d0,vc0)=(1,2,2,0) */
_v_add_co_u32 v4, vcc, v0, 64                      // coord0.1: coord0 += d0*sg0*VW + vc0
v_cmp_lt_u32 s[52:53], v4, s[sgprSizeI]            // coord0 < size0
v_cmp_lt_u32 s[56:57], v1, s[sgprSizeJ]            // coord1 < size1
s_and_b64 s[56:57], s[52:53], s[56:57]             // in0 && in1
_v_add_lshl_u32 v111, v3, v4, 0x0                  // scaleToBpe: accumulate d0 lower and *= bpe into Cin addr
v_cndmask_b32 v111, -1, v111, s[56:57]             // LDD clip if OOB. offset
/* (d1,vc1,d0,vc0)=(1,2,3,0) */
s_mov_b32 s52, 96                                  // coordOffset0 d0=3 vc0=0
_v_add_co_u32 v4, vcc, v0, s52                     // coord0.2: coord0 += d0*sg0*VW + vc0
v_cmp_lt_u32 s[52:53], v4, s[sgprSizeI]            // coord0 < size0
v_cmp_lt_u32 s[56:57], v1, s[sgprSizeJ]            // coord1 < size1
s_and_b64 s[56:57], s[52:53], s[56:57]             // in0 && in1
_v_add_lshl_u32 v113, v3, v4, 0x0                  // scaleToBpe: accumulate d0 lower and *= bpe into Cin addr
v_cndmask_b32 v113, -1, v113, s[56:57]             // LDD clip if OOB. offset
/* (d1,vc1,d0,vc0)=(1,2,4,0) */
s_mov_b32 s52, 128                                 // coordOffset0 d0=4 vc0=0
_v_add_co_u32 v4, vcc, v0, s52                     // coord0.2: coord0 += d0*sg0*VW + vc0
v_cmp_lt_u32 s[52:53], v4, s[sgprSizeI]            // coord0 < size0
v_cmp_lt_u32 s[56:57], v1, s[sgprSizeJ]            // coord1 < size1
s_and_b64 s[56:57], s[52:53], s[56:57]             // in0 && in1
_v_add_lshl_u32 v115, v3, v4, 0x0                  // scaleToBpe: accumulate d0 lower and *= bpe into Cin addr
v_cndmask_b32 v115, -1, v115, s[56:57]             // LDD clip if OOB. offset
/* (d1,vc1,d0,vc0)=(1,2,5,0) */
s_mov_b32 s52, 160                                 // coordOffset0 d0=5 vc0=0
	;; [unrolled: 8-line block ×4, first 2 shown]
_v_add_co_u32 v4, vcc, v0, s52                     // coord0.2: coord0 += d0*sg0*VW + vc0
v_cmp_lt_u32 s[52:53], v4, s[sgprSizeI]            // coord0 < size0
v_cmp_lt_u32 s[56:57], v1, s[sgprSizeJ]            // coord1 < size1
s_and_b64 s[56:57], s[52:53], s[56:57]             // in0 && in1
_v_add_lshl_u32 v124, v3, v4, 0x0                  // scaleToBpe: accumulate d0 lower and *= bpe into Cin addr
v_cndmask_b32 v124, -1, v124, s[56:57]             // LDD clip if OOB. offset
/* (d1,vc1,d0,vc0)=(1,3,0,0) */
_v_add_co_u32 v1, vcc, v1, 1                       // coord1.1: coord1Vgpr += d1*sg1*VW + vc1

/* Fix for UseInitialStridesCD, emitAddressSetupCode */
_v_add_u32 v2, v2, s[sgprStrideC1J]                // ROWINC- Move cinRowPtr to next row
_v_add_u32 v3, v3, s[sgprStrideD1J]                // Move coutRowPtr to next row
v_cmp_lt_u32 s[52:53], v0, s[sgprSizeI]            // coord0 < size0
v_cmp_lt_u32 s[56:57], v1, s[sgprSizeJ]            // coord1 < size1
s_and_b64 s[56:57], s[52:53], s[56:57]             // in0 && in1
_v_add_lshl_u32 v126, v3, v0, 0x0                  // scaleToBpe: accumulate d0 lower and *= bpe into Cin addr
v_cndmask_b32 v126, -1, v126, s[56:57]             // LDD clip if OOB. offset
/* (d1,vc1,d0,vc0)=(1,3,1,0) */
_v_add_co_u32 v4, vcc, v0, 32                      // coord0.1: coord0 += d0*sg0*VW + vc0
v_cmp_lt_u32 s[52:53], v4, s[sgprSizeI]            // coord0 < size0
v_cmp_lt_u32 s[56:57], v1, s[sgprSizeJ]            // coord1 < size1
s_and_b64 s[56:57], s[52:53], s[56:57]             // in0 && in1
_v_add_lshl_u32 v128, v3, v4, 0x0                  // scaleToBpe: accumulate d0 lower and *= bpe into Cin addr
v_cndmask_b32 v128, -1, v128, s[56:57]             // LDD clip if OOB. offset
/* (d1,vc1,d0,vc0)=(1,3,2,0) */
_v_add_co_u32 v4, vcc, v0, 64                      // coord0.1: coord0 += d0*sg0*VW + vc0
v_cmp_lt_u32 s[52:53], v4, s[sgprSizeI]            // coord0 < size0
v_cmp_lt_u32 s[56:57], v1, s[sgprSizeJ]            // coord1 < size1
s_and_b64 s[56:57], s[52:53], s[56:57]             // in0 && in1
_v_add_lshl_u32 v130, v3, v4, 0x0                  // scaleToBpe: accumulate d0 lower and *= bpe into Cin addr
v_cndmask_b32 v130, -1, v130, s[56:57]             // LDD clip if OOB. offset
/* (d1,vc1,d0,vc0)=(1,3,3,0) */
s_mov_b32 s52, 96                                  // coordOffset0 d0=3 vc0=0
_v_add_co_u32 v4, vcc, v0, s52                     // coord0.2: coord0 += d0*sg0*VW + vc0
v_cmp_lt_u32 s[52:53], v4, s[sgprSizeI]            // coord0 < size0
v_cmp_lt_u32 s[56:57], v1, s[sgprSizeJ]            // coord1 < size1
s_and_b64 s[56:57], s[52:53], s[56:57]             // in0 && in1
_v_add_lshl_u32 v132, v3, v4, 0x0                  // scaleToBpe: accumulate d0 lower and *= bpe into Cin addr
v_cndmask_b32 v132, -1, v132, s[56:57]             // LDD clip if OOB. offset
/* (d1,vc1,d0,vc0)=(1,3,4,0) */
s_mov_b32 s52, 128                                 // coordOffset0 d0=4 vc0=0
_v_add_co_u32 v4, vcc, v0, s52                     // coord0.2: coord0 += d0*sg0*VW + vc0
v_cmp_lt_u32 s[52:53], v4, s[sgprSizeI]            // coord0 < size0
v_cmp_lt_u32 s[56:57], v1, s[sgprSizeJ]            // coord1 < size1
s_and_b64 s[56:57], s[52:53], s[56:57]             // in0 && in1
_v_add_lshl_u32 v134, v3, v4, 0x0                  // scaleToBpe: accumulate d0 lower and *= bpe into Cin addr
v_cndmask_b32 v134, -1, v134, s[56:57]             // LDD clip if OOB. offset
/* (d1,vc1,d0,vc0)=(1,3,5,0) */
s_mov_b32 s52, 160                                 // coordOffset0 d0=5 vc0=0
	;; [unrolled: 8-line block ×4, first 2 shown]
_v_add_co_u32 v4, vcc, v0, s52                     // coord0.2: coord0 += d0*sg0*VW + vc0
v_cmp_lt_u32 s[52:53], v4, s[sgprSizeI]            // coord0 < size0
v_cmp_lt_u32 s[56:57], v1, s[sgprSizeJ]            // coord1 < size1
s_and_b64 s[56:57], s[52:53], s[56:57]             // in0 && in1
_v_add_lshl_u32 v140, v3, v4, 0x0                  // scaleToBpe: accumulate d0 lower and *= bpe into Cin addr
v_cndmask_b32 v140, -1, v140, s[56:57]             // LDD clip if OOB. offset
/* (d1,vc1,d0,vc0)=(2,0,0,0) */
_v_add_co_u32 v1, vcc, v1, 5                       // coord1.1: coord1Vgpr += d1*sg1*VW + vc1

/* Fix for UseInitialStridesCD, emitAddressSetupCode */
s_mul_i32 s52, s[sgprStrideC1J], 5                 // scale stride
_v_add_u32 v2, v2, s52                             // ROWINC- Move cinRowPtr to next row
s_mul_i32 s52, s[sgprStrideD1J], 5                 // scale stride
_v_add_u32 v3, v3, s52                             // Move coutRowPtr to next row
v_cmp_lt_u32 s[52:53], v0, s[sgprSizeI]            // coord0 < size0
v_cmp_lt_u32 s[56:57], v1, s[sgprSizeJ]            // coord1 < size1
s_and_b64 s[56:57], s[52:53], s[56:57]             // in0 && in1
_v_add_lshl_u32 v142, v3, v0, 0x0                  // scaleToBpe: accumulate d0 lower and *= bpe into Cin addr
v_cndmask_b32 v142, -1, v142, s[56:57]             // LDD clip if OOB. offset
/* (d1,vc1,d0,vc0)=(2,0,1,0) */
_v_add_co_u32 v4, vcc, v0, 32                      // coord0.1: coord0 += d0*sg0*VW + vc0
v_cmp_lt_u32 s[52:53], v4, s[sgprSizeI]            // coord0 < size0
v_cmp_lt_u32 s[56:57], v1, s[sgprSizeJ]            // coord1 < size1
s_and_b64 s[56:57], s[52:53], s[56:57]             // in0 && in1
_v_add_lshl_u32 v144, v3, v4, 0x0                  // scaleToBpe: accumulate d0 lower and *= bpe into Cin addr
v_cndmask_b32 v144, -1, v144, s[56:57]             // LDD clip if OOB. offset
/* (d1,vc1,d0,vc0)=(2,0,2,0) */
_v_add_co_u32 v4, vcc, v0, 64                      // coord0.1: coord0 += d0*sg0*VW + vc0
v_cmp_lt_u32 s[52:53], v4, s[sgprSizeI]            // coord0 < size0
v_cmp_lt_u32 s[56:57], v1, s[sgprSizeJ]            // coord1 < size1
s_and_b64 s[56:57], s[52:53], s[56:57]             // in0 && in1
_v_add_lshl_u32 v146, v3, v4, 0x0                  // scaleToBpe: accumulate d0 lower and *= bpe into Cin addr
v_cndmask_b32 v146, -1, v146, s[56:57]             // LDD clip if OOB. offset
/* (d1,vc1,d0,vc0)=(2,0,3,0) */
s_mov_b32 s52, 96                                  // coordOffset0 d0=3 vc0=0
_v_add_co_u32 v4, vcc, v0, s52                     // coord0.2: coord0 += d0*sg0*VW + vc0
v_cmp_lt_u32 s[52:53], v4, s[sgprSizeI]            // coord0 < size0
v_cmp_lt_u32 s[56:57], v1, s[sgprSizeJ]            // coord1 < size1
s_and_b64 s[56:57], s[52:53], s[56:57]             // in0 && in1
_v_add_lshl_u32 v148, v3, v4, 0x0                  // scaleToBpe: accumulate d0 lower and *= bpe into Cin addr
v_cndmask_b32 v148, -1, v148, s[56:57]             // LDD clip if OOB. offset
/* (d1,vc1,d0,vc0)=(2,0,4,0) */
s_mov_b32 s52, 128                                 // coordOffset0 d0=4 vc0=0
_v_add_co_u32 v4, vcc, v0, s52                     // coord0.2: coord0 += d0*sg0*VW + vc0
v_cmp_lt_u32 s[52:53], v4, s[sgprSizeI]            // coord0 < size0
v_cmp_lt_u32 s[56:57], v1, s[sgprSizeJ]            // coord1 < size1
s_and_b64 s[56:57], s[52:53], s[56:57]             // in0 && in1
_v_add_lshl_u32 v150, v3, v4, 0x0                  // scaleToBpe: accumulate d0 lower and *= bpe into Cin addr
v_cndmask_b32 v150, -1, v150, s[56:57]             // LDD clip if OOB. offset
/* (d1,vc1,d0,vc0)=(2,0,5,0) */
s_mov_b32 s52, 160                                 // coordOffset0 d0=5 vc0=0
	;; [unrolled: 8-line block ×4, first 2 shown]
_v_add_co_u32 v4, vcc, v0, s52                     // coord0.2: coord0 += d0*sg0*VW + vc0
v_cmp_lt_u32 s[52:53], v4, s[sgprSizeI]            // coord0 < size0
v_cmp_lt_u32 s[56:57], v1, s[sgprSizeJ]            // coord1 < size1
s_and_b64 s[56:57], s[52:53], s[56:57]             // in0 && in1
_v_add_lshl_u32 v156, v3, v4, 0x0                  // scaleToBpe: accumulate d0 lower and *= bpe into Cin addr
v_cndmask_b32 v156, -1, v156, s[56:57]             // LDD clip if OOB. offset
/* (d1,vc1,d0,vc0)=(2,1,0,0) */
_v_add_co_u32 v1, vcc, v1, 1                       // coord1.1: coord1Vgpr += d1*sg1*VW + vc1

/* Fix for UseInitialStridesCD, emitAddressSetupCode */
_v_add_u32 v2, v2, s[sgprStrideC1J]                // ROWINC- Move cinRowPtr to next row
_v_add_u32 v3, v3, s[sgprStrideD1J]                // Move coutRowPtr to next row
v_cmp_lt_u32 s[52:53], v0, s[sgprSizeI]            // coord0 < size0
v_cmp_lt_u32 s[56:57], v1, s[sgprSizeJ]            // coord1 < size1
s_and_b64 s[56:57], s[52:53], s[56:57]             // in0 && in1
_v_add_lshl_u32 v158, v3, v0, 0x0                  // scaleToBpe: accumulate d0 lower and *= bpe into Cin addr
v_cndmask_b32 v158, -1, v158, s[56:57]             // LDD clip if OOB. offset
/* (d1,vc1,d0,vc0)=(2,1,1,0) */
_v_add_co_u32 v4, vcc, v0, 32                      // coord0.1: coord0 += d0*sg0*VW + vc0
v_cmp_lt_u32 s[52:53], v4, s[sgprSizeI]            // coord0 < size0
v_cmp_lt_u32 s[56:57], v1, s[sgprSizeJ]            // coord1 < size1
s_and_b64 s[56:57], s[52:53], s[56:57]             // in0 && in1
_v_add_lshl_u32 v160, v3, v4, 0x0                  // scaleToBpe: accumulate d0 lower and *= bpe into Cin addr
v_cndmask_b32 v160, -1, v160, s[56:57]             // LDD clip if OOB. offset
/* (d1,vc1,d0,vc0)=(2,1,2,0) */
_v_add_co_u32 v4, vcc, v0, 64                      // coord0.1: coord0 += d0*sg0*VW + vc0
v_cmp_lt_u32 s[52:53], v4, s[sgprSizeI]            // coord0 < size0
v_cmp_lt_u32 s[56:57], v1, s[sgprSizeJ]            // coord1 < size1
s_and_b64 s[56:57], s[52:53], s[56:57]             // in0 && in1
_v_add_lshl_u32 v162, v3, v4, 0x0                  // scaleToBpe: accumulate d0 lower and *= bpe into Cin addr
v_cndmask_b32 v162, -1, v162, s[56:57]             // LDD clip if OOB. offset
/* (d1,vc1,d0,vc0)=(2,1,3,0) */
s_mov_b32 s52, 96                                  // coordOffset0 d0=3 vc0=0
_v_add_co_u32 v4, vcc, v0, s52                     // coord0.2: coord0 += d0*sg0*VW + vc0
v_cmp_lt_u32 s[52:53], v4, s[sgprSizeI]            // coord0 < size0
v_cmp_lt_u32 s[56:57], v1, s[sgprSizeJ]            // coord1 < size1
s_and_b64 s[56:57], s[52:53], s[56:57]             // in0 && in1
_v_add_lshl_u32 v164, v3, v4, 0x0                  // scaleToBpe: accumulate d0 lower and *= bpe into Cin addr
v_cndmask_b32 v164, -1, v164, s[56:57]             // LDD clip if OOB. offset
/* (d1,vc1,d0,vc0)=(2,1,4,0) */
s_mov_b32 s52, 128                                 // coordOffset0 d0=4 vc0=0
_v_add_co_u32 v4, vcc, v0, s52                     // coord0.2: coord0 += d0*sg0*VW + vc0
v_cmp_lt_u32 s[52:53], v4, s[sgprSizeI]            // coord0 < size0
v_cmp_lt_u32 s[56:57], v1, s[sgprSizeJ]            // coord1 < size1
s_and_b64 s[56:57], s[52:53], s[56:57]             // in0 && in1
_v_add_lshl_u32 v166, v3, v4, 0x0                  // scaleToBpe: accumulate d0 lower and *= bpe into Cin addr
v_cndmask_b32 v166, -1, v166, s[56:57]             // LDD clip if OOB. offset
/* (d1,vc1,d0,vc0)=(2,1,5,0) */
s_mov_b32 s52, 160                                 // coordOffset0 d0=5 vc0=0
	;; [unrolled: 8-line block ×4, first 2 shown]
_v_add_co_u32 v4, vcc, v0, s52                     // coord0.2: coord0 += d0*sg0*VW + vc0
v_cmp_lt_u32 s[52:53], v4, s[sgprSizeI]            // coord0 < size0
v_cmp_lt_u32 s[56:57], v1, s[sgprSizeJ]            // coord1 < size1
s_and_b64 s[56:57], s[52:53], s[56:57]             // in0 && in1
_v_add_lshl_u32 v172, v3, v4, 0x0                  // scaleToBpe: accumulate d0 lower and *= bpe into Cin addr
v_cndmask_b32 v172, -1, v172, s[56:57]             // LDD clip if OOB. offset
/* (d1,vc1,d0,vc0)=(2,2,0,0) */
_v_add_co_u32 v1, vcc, v1, 1                       // coord1.1: coord1Vgpr += d1*sg1*VW + vc1

/* Fix for UseInitialStridesCD, emitAddressSetupCode */
_v_add_u32 v2, v2, s[sgprStrideC1J]                // ROWINC- Move cinRowPtr to next row
_v_add_u32 v3, v3, s[sgprStrideD1J]                // Move coutRowPtr to next row
v_cmp_lt_u32 s[52:53], v0, s[sgprSizeI]            // coord0 < size0
v_cmp_lt_u32 s[56:57], v1, s[sgprSizeJ]            // coord1 < size1
s_and_b64 s[56:57], s[52:53], s[56:57]             // in0 && in1
_v_add_lshl_u32 v174, v3, v0, 0x0                  // scaleToBpe: accumulate d0 lower and *= bpe into Cin addr
v_cndmask_b32 v174, -1, v174, s[56:57]             // LDD clip if OOB. offset
/* (d1,vc1,d0,vc0)=(2,2,1,0) */
_v_add_co_u32 v4, vcc, v0, 32                      // coord0.1: coord0 += d0*sg0*VW + vc0
v_cmp_lt_u32 s[52:53], v4, s[sgprSizeI]            // coord0 < size0
v_cmp_lt_u32 s[56:57], v1, s[sgprSizeJ]            // coord1 < size1
s_and_b64 s[56:57], s[52:53], s[56:57]             // in0 && in1
_v_add_lshl_u32 v176, v3, v4, 0x0                  // scaleToBpe: accumulate d0 lower and *= bpe into Cin addr
v_cndmask_b32 v176, -1, v176, s[56:57]             // LDD clip if OOB. offset
/* (d1,vc1,d0,vc0)=(2,2,2,0) */
_v_add_co_u32 v4, vcc, v0, 64                      // coord0.1: coord0 += d0*sg0*VW + vc0
v_cmp_lt_u32 s[52:53], v4, s[sgprSizeI]            // coord0 < size0
v_cmp_lt_u32 s[56:57], v1, s[sgprSizeJ]            // coord1 < size1
s_and_b64 s[56:57], s[52:53], s[56:57]             // in0 && in1
_v_add_lshl_u32 v178, v3, v4, 0x0                  // scaleToBpe: accumulate d0 lower and *= bpe into Cin addr
v_cndmask_b32 v178, -1, v178, s[56:57]             // LDD clip if OOB. offset
/* (d1,vc1,d0,vc0)=(2,2,3,0) */
s_mov_b32 s52, 96                                  // coordOffset0 d0=3 vc0=0
_v_add_co_u32 v4, vcc, v0, s52                     // coord0.2: coord0 += d0*sg0*VW + vc0
v_cmp_lt_u32 s[52:53], v4, s[sgprSizeI]            // coord0 < size0
v_cmp_lt_u32 s[56:57], v1, s[sgprSizeJ]            // coord1 < size1
s_and_b64 s[56:57], s[52:53], s[56:57]             // in0 && in1
_v_add_lshl_u32 v180, v3, v4, 0x0                  // scaleToBpe: accumulate d0 lower and *= bpe into Cin addr
v_cndmask_b32 v180, -1, v180, s[56:57]             // LDD clip if OOB. offset
/* (d1,vc1,d0,vc0)=(2,2,4,0) */
s_mov_b32 s52, 128                                 // coordOffset0 d0=4 vc0=0
_v_add_co_u32 v4, vcc, v0, s52                     // coord0.2: coord0 += d0*sg0*VW + vc0
v_cmp_lt_u32 s[52:53], v4, s[sgprSizeI]            // coord0 < size0
v_cmp_lt_u32 s[56:57], v1, s[sgprSizeJ]            // coord1 < size1
s_and_b64 s[56:57], s[52:53], s[56:57]             // in0 && in1
_v_add_lshl_u32 v182, v3, v4, 0x0                  // scaleToBpe: accumulate d0 lower and *= bpe into Cin addr
v_cndmask_b32 v182, -1, v182, s[56:57]             // LDD clip if OOB. offset
/* (d1,vc1,d0,vc0)=(2,2,5,0) */
s_mov_b32 s52, 160                                 // coordOffset0 d0=5 vc0=0
	;; [unrolled: 8-line block ×4, first 2 shown]
_v_add_co_u32 v4, vcc, v0, s52                     // coord0.2: coord0 += d0*sg0*VW + vc0
v_cmp_lt_u32 s[52:53], v4, s[sgprSizeI]            // coord0 < size0
v_cmp_lt_u32 s[56:57], v1, s[sgprSizeJ]            // coord1 < size1
s_and_b64 s[56:57], s[52:53], s[56:57]             // in0 && in1
_v_add_lshl_u32 v188, v3, v4, 0x0                  // scaleToBpe: accumulate d0 lower and *= bpe into Cin addr
v_cndmask_b32 v188, -1, v188, s[56:57]             // LDD clip if OOB. offset
/* (d1,vc1,d0,vc0)=(2,3,0,0) */
_v_add_co_u32 v1, vcc, v1, 1                       // coord1.1: coord1Vgpr += d1*sg1*VW + vc1

/* Fix for UseInitialStridesCD, emitAddressSetupCode */
_v_add_u32 v2, v2, s[sgprStrideC1J]                // ROWINC- Move cinRowPtr to next row
_v_add_u32 v3, v3, s[sgprStrideD1J]                // Move coutRowPtr to next row
v_cmp_lt_u32 s[52:53], v0, s[sgprSizeI]            // coord0 < size0
v_cmp_lt_u32 s[56:57], v1, s[sgprSizeJ]            // coord1 < size1
s_and_b64 s[56:57], s[52:53], s[56:57]             // in0 && in1
_v_add_lshl_u32 v190, v3, v0, 0x0                  // scaleToBpe: accumulate d0 lower and *= bpe into Cin addr
v_cndmask_b32 v190, -1, v190, s[56:57]             // LDD clip if OOB. offset
/* (d1,vc1,d0,vc0)=(2,3,1,0) */
_v_add_co_u32 v4, vcc, v0, 32                      // coord0.1: coord0 += d0*sg0*VW + vc0
v_cmp_lt_u32 s[52:53], v4, s[sgprSizeI]            // coord0 < size0
v_cmp_lt_u32 s[56:57], v1, s[sgprSizeJ]            // coord1 < size1
s_and_b64 s[56:57], s[52:53], s[56:57]             // in0 && in1
_v_add_lshl_u32 v192, v3, v4, 0x0                  // scaleToBpe: accumulate d0 lower and *= bpe into Cin addr
v_cndmask_b32 v192, -1, v192, s[56:57]             // LDD clip if OOB. offset
/* (d1,vc1,d0,vc0)=(2,3,2,0) */
_v_add_co_u32 v4, vcc, v0, 64                      // coord0.1: coord0 += d0*sg0*VW + vc0
v_cmp_lt_u32 s[52:53], v4, s[sgprSizeI]            // coord0 < size0
v_cmp_lt_u32 s[56:57], v1, s[sgprSizeJ]            // coord1 < size1
s_and_b64 s[56:57], s[52:53], s[56:57]             // in0 && in1
_v_add_lshl_u32 v194, v3, v4, 0x0                  // scaleToBpe: accumulate d0 lower and *= bpe into Cin addr
v_cndmask_b32 v194, -1, v194, s[56:57]             // LDD clip if OOB. offset
/* (d1,vc1,d0,vc0)=(2,3,3,0) */
s_mov_b32 s52, 96                                  // coordOffset0 d0=3 vc0=0
_v_add_co_u32 v4, vcc, v0, s52                     // coord0.2: coord0 += d0*sg0*VW + vc0
v_cmp_lt_u32 s[52:53], v4, s[sgprSizeI]            // coord0 < size0
v_cmp_lt_u32 s[56:57], v1, s[sgprSizeJ]            // coord1 < size1
s_and_b64 s[56:57], s[52:53], s[56:57]             // in0 && in1
_v_add_lshl_u32 v196, v3, v4, 0x0                  // scaleToBpe: accumulate d0 lower and *= bpe into Cin addr
v_cndmask_b32 v196, -1, v196, s[56:57]             // LDD clip if OOB. offset
/* (d1,vc1,d0,vc0)=(2,3,4,0) */
s_mov_b32 s52, 128                                 // coordOffset0 d0=4 vc0=0
_v_add_co_u32 v4, vcc, v0, s52                     // coord0.2: coord0 += d0*sg0*VW + vc0
v_cmp_lt_u32 s[52:53], v4, s[sgprSizeI]            // coord0 < size0
v_cmp_lt_u32 s[56:57], v1, s[sgprSizeJ]            // coord1 < size1
s_and_b64 s[56:57], s[52:53], s[56:57]             // in0 && in1
_v_add_lshl_u32 v198, v3, v4, 0x0                  // scaleToBpe: accumulate d0 lower and *= bpe into Cin addr
v_cndmask_b32 v198, -1, v198, s[56:57]             // LDD clip if OOB. offset
/* (d1,vc1,d0,vc0)=(2,3,5,0) */
s_mov_b32 s52, 160                                 // coordOffset0 d0=5 vc0=0
	;; [unrolled: 8-line block ×4, first 2 shown]
_v_add_co_u32 v4, vcc, v0, s52                     // coord0.2: coord0 += d0*sg0*VW + vc0
v_cmp_lt_u32 s[52:53], v4, s[sgprSizeI]            // coord0 < size0
v_cmp_lt_u32 s[56:57], v1, s[sgprSizeJ]            // coord1 < size1
s_and_b64 s[56:57], s[52:53], s[56:57]             // in0 && in1
_v_add_lshl_u32 v204, v3, v4, 0x0                  // scaleToBpe: accumulate d0 lower and *= bpe into Cin addr
v_cndmask_b32 v204, -1, v204, s[56:57]             // LDD clip if OOB. offset
/* (d1,vc1,d0,vc0)=(3,0,0,0) */
_v_add_co_u32 v1, vcc, v1, 5                       // coord1.1: coord1Vgpr += d1*sg1*VW + vc1

/* Fix for UseInitialStridesCD, emitAddressSetupCode */
s_mul_i32 s52, s[sgprStrideC1J], 5                 // scale stride
_v_add_u32 v2, v2, s52                             // ROWINC- Move cinRowPtr to next row
s_mul_i32 s52, s[sgprStrideD1J], 5                 // scale stride
_v_add_u32 v3, v3, s52                             // Move coutRowPtr to next row
v_cmp_lt_u32 s[52:53], v0, s[sgprSizeI]            // coord0 < size0
v_cmp_lt_u32 s[56:57], v1, s[sgprSizeJ]            // coord1 < size1
s_and_b64 s[56:57], s[52:53], s[56:57]             // in0 && in1
_v_add_lshl_u32 v206, v3, v0, 0x0                  // scaleToBpe: accumulate d0 lower and *= bpe into Cin addr
v_cndmask_b32 v206, -1, v206, s[56:57]             // LDD clip if OOB. offset
/* (d1,vc1,d0,vc0)=(3,0,1,0) */
_v_add_co_u32 v4, vcc, v0, 32                      // coord0.1: coord0 += d0*sg0*VW + vc0
v_cmp_lt_u32 s[52:53], v4, s[sgprSizeI]            // coord0 < size0
v_cmp_lt_u32 s[56:57], v1, s[sgprSizeJ]            // coord1 < size1
s_and_b64 s[56:57], s[52:53], s[56:57]             // in0 && in1
_v_add_lshl_u32 v208, v3, v4, 0x0                  // scaleToBpe: accumulate d0 lower and *= bpe into Cin addr
v_cndmask_b32 v208, -1, v208, s[56:57]             // LDD clip if OOB. offset
/* (d1,vc1,d0,vc0)=(3,0,2,0) */
_v_add_co_u32 v4, vcc, v0, 64                      // coord0.1: coord0 += d0*sg0*VW + vc0
v_cmp_lt_u32 s[52:53], v4, s[sgprSizeI]            // coord0 < size0
v_cmp_lt_u32 s[56:57], v1, s[sgprSizeJ]            // coord1 < size1
s_and_b64 s[56:57], s[52:53], s[56:57]             // in0 && in1
_v_add_lshl_u32 v210, v3, v4, 0x0                  // scaleToBpe: accumulate d0 lower and *= bpe into Cin addr
v_cndmask_b32 v210, -1, v210, s[56:57]             // LDD clip if OOB. offset
/* (d1,vc1,d0,vc0)=(3,0,3,0) */
s_mov_b32 s52, 96                                  // coordOffset0 d0=3 vc0=0
_v_add_co_u32 v4, vcc, v0, s52                     // coord0.2: coord0 += d0*sg0*VW + vc0
v_cmp_lt_u32 s[52:53], v4, s[sgprSizeI]            // coord0 < size0
v_cmp_lt_u32 s[56:57], v1, s[sgprSizeJ]            // coord1 < size1
s_and_b64 s[56:57], s[52:53], s[56:57]             // in0 && in1
_v_add_lshl_u32 v212, v3, v4, 0x0                  // scaleToBpe: accumulate d0 lower and *= bpe into Cin addr
v_cndmask_b32 v212, -1, v212, s[56:57]             // LDD clip if OOB. offset
/* (d1,vc1,d0,vc0)=(3,0,4,0) */
s_mov_b32 s52, 128                                 // coordOffset0 d0=4 vc0=0
_v_add_co_u32 v4, vcc, v0, s52                     // coord0.2: coord0 += d0*sg0*VW + vc0
v_cmp_lt_u32 s[52:53], v4, s[sgprSizeI]            // coord0 < size0
v_cmp_lt_u32 s[56:57], v1, s[sgprSizeJ]            // coord1 < size1
s_and_b64 s[56:57], s[52:53], s[56:57]             // in0 && in1
_v_add_lshl_u32 v214, v3, v4, 0x0                  // scaleToBpe: accumulate d0 lower and *= bpe into Cin addr
v_cndmask_b32 v214, -1, v214, s[56:57]             // LDD clip if OOB. offset
/* (d1,vc1,d0,vc0)=(3,0,5,0) */
s_mov_b32 s52, 160                                 // coordOffset0 d0=5 vc0=0
	;; [unrolled: 8-line block ×4, first 2 shown]
_v_add_co_u32 v4, vcc, v0, s52                     // coord0.2: coord0 += d0*sg0*VW + vc0
v_cmp_lt_u32 s[52:53], v4, s[sgprSizeI]            // coord0 < size0
v_cmp_lt_u32 s[56:57], v1, s[sgprSizeJ]            // coord1 < size1
s_and_b64 s[56:57], s[52:53], s[56:57]             // in0 && in1
_v_add_lshl_u32 v220, v3, v4, 0x0                  // scaleToBpe: accumulate d0 lower and *= bpe into Cin addr
v_cndmask_b32 v220, -1, v220, s[56:57]             // LDD clip if OOB. offset
/* (d1,vc1,d0,vc0)=(3,1,0,0) */
_v_add_co_u32 v1, vcc, v1, 1                       // coord1.1: coord1Vgpr += d1*sg1*VW + vc1

/* Fix for UseInitialStridesCD, emitAddressSetupCode */
_v_add_u32 v2, v2, s[sgprStrideC1J]                // ROWINC- Move cinRowPtr to next row
_v_add_u32 v3, v3, s[sgprStrideD1J]                // Move coutRowPtr to next row
v_cmp_lt_u32 s[52:53], v0, s[sgprSizeI]            // coord0 < size0
v_cmp_lt_u32 s[56:57], v1, s[sgprSizeJ]            // coord1 < size1
s_and_b64 s[56:57], s[52:53], s[56:57]             // in0 && in1
_v_add_lshl_u32 v222, v3, v0, 0x0                  // scaleToBpe: accumulate d0 lower and *= bpe into Cin addr
v_cndmask_b32 v222, -1, v222, s[56:57]             // LDD clip if OOB. offset
/* (d1,vc1,d0,vc0)=(3,1,1,0) */
_v_add_co_u32 v4, vcc, v0, 32                      // coord0.1: coord0 += d0*sg0*VW + vc0
v_cmp_lt_u32 s[52:53], v4, s[sgprSizeI]            // coord0 < size0
v_cmp_lt_u32 s[56:57], v1, s[sgprSizeJ]            // coord1 < size1
s_and_b64 s[56:57], s[52:53], s[56:57]             // in0 && in1
_v_add_lshl_u32 v224, v3, v4, 0x0                  // scaleToBpe: accumulate d0 lower and *= bpe into Cin addr
v_cndmask_b32 v224, -1, v224, s[56:57]             // LDD clip if OOB. offset
/* (d1,vc1,d0,vc0)=(3,1,2,0) */
_v_add_co_u32 v4, vcc, v0, 64                      // coord0.1: coord0 += d0*sg0*VW + vc0
v_cmp_lt_u32 s[52:53], v4, s[sgprSizeI]            // coord0 < size0
v_cmp_lt_u32 s[56:57], v1, s[sgprSizeJ]            // coord1 < size1
s_and_b64 s[56:57], s[52:53], s[56:57]             // in0 && in1
_v_add_lshl_u32 v226, v3, v4, 0x0                  // scaleToBpe: accumulate d0 lower and *= bpe into Cin addr
v_cndmask_b32 v226, -1, v226, s[56:57]             // LDD clip if OOB. offset
/* (d1,vc1,d0,vc0)=(3,1,3,0) */
s_mov_b32 s52, 96                                  // coordOffset0 d0=3 vc0=0
_v_add_co_u32 v4, vcc, v0, s52                     // coord0.2: coord0 += d0*sg0*VW + vc0
v_cmp_lt_u32 s[52:53], v4, s[sgprSizeI]            // coord0 < size0
v_cmp_lt_u32 s[56:57], v1, s[sgprSizeJ]            // coord1 < size1
s_and_b64 s[56:57], s[52:53], s[56:57]             // in0 && in1
_v_add_lshl_u32 v228, v3, v4, 0x0                  // scaleToBpe: accumulate d0 lower and *= bpe into Cin addr
v_cndmask_b32 v228, -1, v228, s[56:57]             // LDD clip if OOB. offset
/* (d1,vc1,d0,vc0)=(3,1,4,0) */
s_mov_b32 s52, 128                                 // coordOffset0 d0=4 vc0=0
_v_add_co_u32 v4, vcc, v0, s52                     // coord0.2: coord0 += d0*sg0*VW + vc0
v_cmp_lt_u32 s[52:53], v4, s[sgprSizeI]            // coord0 < size0
v_cmp_lt_u32 s[56:57], v1, s[sgprSizeJ]            // coord1 < size1
s_and_b64 s[56:57], s[52:53], s[56:57]             // in0 && in1
_v_add_lshl_u32 v230, v3, v4, 0x0                  // scaleToBpe: accumulate d0 lower and *= bpe into Cin addr
v_cndmask_b32 v230, -1, v230, s[56:57]             // LDD clip if OOB. offset
/* (d1,vc1,d0,vc0)=(3,1,5,0) */
s_mov_b32 s52, 160                                 // coordOffset0 d0=5 vc0=0
	;; [unrolled: 8-line block ×4, first 2 shown]
_v_add_co_u32 v4, vcc, v0, s52                     // coord0.2: coord0 += d0*sg0*VW + vc0
v_cmp_lt_u32 s[52:53], v4, s[sgprSizeI]            // coord0 < size0
v_cmp_lt_u32 s[56:57], v1, s[sgprSizeJ]            // coord1 < size1
s_and_b64 s[56:57], s[52:53], s[56:57]             // in0 && in1
_v_add_lshl_u32 v236, v3, v4, 0x0                  // scaleToBpe: accumulate d0 lower and *= bpe into Cin addr
v_cndmask_b32 v236, -1, v236, s[56:57]             // LDD clip if OOB. offset
/* (d1,vc1,d0,vc0)=(3,2,0,0) */
_v_add_co_u32 v1, vcc, v1, 1                       // coord1.1: coord1Vgpr += d1*sg1*VW + vc1

/* Fix for UseInitialStridesCD, emitAddressSetupCode */
_v_add_u32 v2, v2, s[sgprStrideC1J]                // ROWINC- Move cinRowPtr to next row
_v_add_u32 v3, v3, s[sgprStrideD1J]                // Move coutRowPtr to next row
v_cmp_lt_u32 s[52:53], v0, s[sgprSizeI]            // coord0 < size0
v_cmp_lt_u32 s[56:57], v1, s[sgprSizeJ]            // coord1 < size1
s_and_b64 s[56:57], s[52:53], s[56:57]             // in0 && in1
_v_add_lshl_u32 v238, v3, v0, 0x0                  // scaleToBpe: accumulate d0 lower and *= bpe into Cin addr
v_cndmask_b32 v238, -1, v238, s[56:57]             // LDD clip if OOB. offset
/* (d1,vc1,d0,vc0)=(3,2,1,0) */
_v_add_co_u32 v4, vcc, v0, 32                      // coord0.1: coord0 += d0*sg0*VW + vc0
v_cmp_lt_u32 s[52:53], v4, s[sgprSizeI]            // coord0 < size0
v_cmp_lt_u32 s[56:57], v1, s[sgprSizeJ]            // coord1 < size1
s_and_b64 s[56:57], s[52:53], s[56:57]             // in0 && in1
_v_add_lshl_u32 v240, v3, v4, 0x0                  // scaleToBpe: accumulate d0 lower and *= bpe into Cin addr
v_cndmask_b32 v240, -1, v240, s[56:57]             // LDD clip if OOB. offset
/* (d1,vc1,d0,vc0)=(3,2,2,0) */
_v_add_co_u32 v4, vcc, v0, 64                      // coord0.1: coord0 += d0*sg0*VW + vc0
v_cmp_lt_u32 s[52:53], v4, s[sgprSizeI]            // coord0 < size0
v_cmp_lt_u32 s[56:57], v1, s[sgprSizeJ]            // coord1 < size1
s_and_b64 s[56:57], s[52:53], s[56:57]             // in0 && in1
_v_add_lshl_u32 v242, v3, v4, 0x0                  // scaleToBpe: accumulate d0 lower and *= bpe into Cin addr
v_cndmask_b32 v242, -1, v242, s[56:57]             // LDD clip if OOB. offset
/* (d1,vc1,d0,vc0)=(3,2,3,0) */
s_mov_b32 s52, 96                                  // coordOffset0 d0=3 vc0=0
_v_add_co_u32 v4, vcc, v0, s52                     // coord0.2: coord0 += d0*sg0*VW + vc0
v_cmp_lt_u32 s[52:53], v4, s[sgprSizeI]            // coord0 < size0
v_cmp_lt_u32 s[56:57], v1, s[sgprSizeJ]            // coord1 < size1
s_and_b64 s[56:57], s[52:53], s[56:57]             // in0 && in1
_v_add_lshl_u32 v244, v3, v4, 0x0                  // scaleToBpe: accumulate d0 lower and *= bpe into Cin addr
v_cndmask_b32 v244, -1, v244, s[56:57]             // LDD clip if OOB. offset
/* (d1,vc1,d0,vc0)=(3,2,4,0) */
s_mov_b32 s52, 128                                 // coordOffset0 d0=4 vc0=0
_v_add_co_u32 v4, vcc, v0, s52                     // coord0.2: coord0 += d0*sg0*VW + vc0
v_cmp_lt_u32 s[52:53], v4, s[sgprSizeI]            // coord0 < size0
v_cmp_lt_u32 s[56:57], v1, s[sgprSizeJ]            // coord1 < size1
s_and_b64 s[56:57], s[52:53], s[56:57]             // in0 && in1
_v_add_lshl_u32 v246, v3, v4, 0x0                  // scaleToBpe: accumulate d0 lower and *= bpe into Cin addr
v_cndmask_b32 v246, -1, v246, s[56:57]             // LDD clip if OOB. offset
/* (d1,vc1,d0,vc0)=(3,2,5,0) */
s_mov_b32 s52, 160                                 // coordOffset0 d0=5 vc0=0
	;; [unrolled: 8-line block ×4, first 2 shown]
_v_add_co_u32 v4, vcc, v0, s52                     // coord0.2: coord0 += d0*sg0*VW + vc0
v_cmp_lt_u32 s[52:53], v4, s[sgprSizeI]            // coord0 < size0
v_cmp_lt_u32 s[56:57], v1, s[sgprSizeJ]            // coord1 < size1
s_and_b64 s[56:57], s[52:53], s[56:57]             // in0 && in1
_v_add_lshl_u32 v252, v3, v4, 0x0                  // scaleToBpe: accumulate d0 lower and *= bpe into Cin addr
v_cndmask_b32 v252, -1, v252, s[56:57]             // LDD clip if OOB. offset
v_accvgpr_read_b32 v[vgprValuC+12], acc0 // copy acc to vreg[0]
v_accvgpr_read_b32 v[vgprValuC+14], acc16 // copy acc to vreg[1]
v_accvgpr_read_b32 v[vgprValuC+16], acc32 // copy acc to vreg[2]
v_accvgpr_read_b32 v[vgprValuC+18], acc48 // copy acc to vreg[3]
v_accvgpr_read_b32 v[vgprValuC+20], acc64 // copy acc to vreg[4]
v_accvgpr_read_b32 v[vgprValuC+22], acc80 // copy acc to vreg[5]
v_accvgpr_read_b32 v[vgprValuC+24], acc96 // copy acc to vreg[6]
v_accvgpr_read_b32 v[vgprValuC+26], acc112 // copy acc to vreg[7]
v_accvgpr_read_b32 v[vgprValuC+28], acc1 // copy acc to vreg[8]
v_accvgpr_read_b32 v[vgprValuC+30], acc17 // copy acc to vreg[9]
v_accvgpr_read_b32 v[vgprValuC+32], acc33 // copy acc to vreg[10]
v_accvgpr_read_b32 v[vgprValuC+34], acc49 // copy acc to vreg[11]
v_accvgpr_read_b32 v[vgprValuC+36], acc65 // copy acc to vreg[12]
v_accvgpr_read_b32 v[vgprValuC+38], acc81 // copy acc to vreg[13]
v_accvgpr_read_b32 v[vgprValuC+40], acc97 // copy acc to vreg[14]
v_accvgpr_read_b32 v[vgprValuC+42], acc113 // copy acc to vreg[15]
v_accvgpr_read_b32 v[vgprValuC+44], acc2 // copy acc to vreg[16]
v_accvgpr_read_b32 v[vgprValuC+46], acc18 // copy acc to vreg[17]
v_accvgpr_read_b32 v[vgprValuC+48], acc34 // copy acc to vreg[18]
v_accvgpr_read_b32 v[vgprValuC+50], acc50 // copy acc to vreg[19]
v_accvgpr_read_b32 v[vgprValuC+52], acc66 // copy acc to vreg[20]
v_accvgpr_read_b32 v[vgprValuC+54], acc82 // copy acc to vreg[21]
v_accvgpr_read_b32 v[vgprValuC+56], acc98 // copy acc to vreg[22]
v_accvgpr_read_b32 v[vgprValuC+58], acc114 // copy acc to vreg[23]
v_accvgpr_read_b32 v[vgprValuC+60], acc3 // copy acc to vreg[24]
v_accvgpr_read_b32 v[vgprValuC+62], acc19 // copy acc to vreg[25]
v_accvgpr_read_b32 v[vgprValuC+64], acc35 // copy acc to vreg[26]
v_accvgpr_read_b32 v[vgprValuC+66], acc51 // copy acc to vreg[27]
v_accvgpr_read_b32 v[vgprValuC+68], acc67 // copy acc to vreg[28]
v_accvgpr_read_b32 v[vgprValuC+70], acc83 // copy acc to vreg[29]
v_accvgpr_read_b32 v[vgprValuC+72], acc99 // copy acc to vreg[30]
v_accvgpr_read_b32 v[vgprValuC+74], acc115 // copy acc to vreg[31]
v_accvgpr_read_b32 v[vgprValuC+76], acc4 // copy acc to vreg[32]
v_accvgpr_read_b32 v[vgprValuC+78], acc20 // copy acc to vreg[33]
v_accvgpr_read_b32 v[vgprValuC+80], acc36 // copy acc to vreg[34]
v_accvgpr_read_b32 v[vgprValuC+82], acc52 // copy acc to vreg[35]
v_accvgpr_read_b32 v[vgprValuC+84], acc68 // copy acc to vreg[36]
v_accvgpr_read_b32 v[vgprValuC+86], acc84 // copy acc to vreg[37]
v_accvgpr_read_b32 v[vgprValuC+88], acc100 // copy acc to vreg[38]
v_accvgpr_read_b32 v[vgprValuC+90], acc116 // copy acc to vreg[39]
v_accvgpr_read_b32 v[vgprValuC+92], acc5 // copy acc to vreg[40]
v_accvgpr_read_b32 v[vgprValuC+94], acc21 // copy acc to vreg[41]
v_accvgpr_read_b32 v[vgprValuC+96], acc37 // copy acc to vreg[42]
v_accvgpr_read_b32 v[vgprValuC+98], acc53 // copy acc to vreg[43]
v_accvgpr_read_b32 v[vgprValuC+100], acc69 // copy acc to vreg[44]
v_accvgpr_read_b32 v[vgprValuC+102], acc85 // copy acc to vreg[45]
v_accvgpr_read_b32 v[vgprValuC+104], acc101 // copy acc to vreg[46]
v_accvgpr_read_b32 v[vgprValuC+106], acc117 // copy acc to vreg[47]
v_accvgpr_read_b32 v[vgprValuC+108], acc6 // copy acc to vreg[48]
v_accvgpr_read_b32 v[vgprValuC+110], acc22 // copy acc to vreg[49]
v_accvgpr_read_b32 v[vgprValuC+112], acc38 // copy acc to vreg[50]
v_accvgpr_read_b32 v[vgprValuC+114], acc54 // copy acc to vreg[51]
v_accvgpr_read_b32 v[vgprValuC+119], acc70 // copy acc to vreg[52]
v_accvgpr_read_b32 v[vgprValuC+121], acc86 // copy acc to vreg[53]
v_accvgpr_read_b32 v[vgprValuC+123], acc102 // copy acc to vreg[54]
v_accvgpr_read_b32 v[vgprValuC+125], acc118 // copy acc to vreg[55]
v_accvgpr_read_b32 v[vgprValuC+127], acc7 // copy acc to vreg[56]
v_accvgpr_read_b32 v[vgprValuC+129], acc23 // copy acc to vreg[57]
v_accvgpr_read_b32 v[vgprValuC+131], acc39 // copy acc to vreg[58]
v_accvgpr_read_b32 v[vgprValuC+133], acc55 // copy acc to vreg[59]
v_accvgpr_read_b32 v[vgprValuC+135], acc71 // copy acc to vreg[60]
v_accvgpr_read_b32 v[vgprValuC+137], acc87 // copy acc to vreg[61]
v_accvgpr_read_b32 v[vgprValuC+139], acc103 // copy acc to vreg[62]
v_accvgpr_read_b32 v[vgprValuC+141], acc119 // copy acc to vreg[63]
v_accvgpr_read_b32 v[vgprValuC+143], acc8 // copy acc to vreg[64]
v_accvgpr_read_b32 v[vgprValuC+145], acc24 // copy acc to vreg[65]
v_accvgpr_read_b32 v[vgprValuC+147], acc40 // copy acc to vreg[66]
v_accvgpr_read_b32 v[vgprValuC+149], acc56 // copy acc to vreg[67]
v_accvgpr_read_b32 v[vgprValuC+151], acc72 // copy acc to vreg[68]
v_accvgpr_read_b32 v[vgprValuC+153], acc88 // copy acc to vreg[69]
v_accvgpr_read_b32 v[vgprValuC+155], acc104 // copy acc to vreg[70]
v_accvgpr_read_b32 v[vgprValuC+157], acc120 // copy acc to vreg[71]
v_accvgpr_read_b32 v[vgprValuC+159], acc9 // copy acc to vreg[72]
v_accvgpr_read_b32 v[vgprValuC+161], acc25 // copy acc to vreg[73]
v_accvgpr_read_b32 v[vgprValuC+163], acc41 // copy acc to vreg[74]
v_accvgpr_read_b32 v[vgprValuC+165], acc57 // copy acc to vreg[75]
v_accvgpr_read_b32 v[vgprValuC+167], acc73 // copy acc to vreg[76]
v_accvgpr_read_b32 v[vgprValuC+169], acc89 // copy acc to vreg[77]
v_accvgpr_read_b32 v[vgprValuC+171], acc105 // copy acc to vreg[78]
v_accvgpr_read_b32 v[vgprValuC+173], acc121 // copy acc to vreg[79]
v_accvgpr_read_b32 v[vgprValuC+175], acc10 // copy acc to vreg[80]
v_accvgpr_read_b32 v[vgprValuC+177], acc26 // copy acc to vreg[81]
v_accvgpr_read_b32 v[vgprValuC+179], acc42 // copy acc to vreg[82]
v_accvgpr_read_b32 v[vgprValuC+181], acc58 // copy acc to vreg[83]
v_accvgpr_read_b32 v[vgprValuC+183], acc74 // copy acc to vreg[84]
v_accvgpr_read_b32 v[vgprValuC+185], acc90 // copy acc to vreg[85]
v_accvgpr_read_b32 v[vgprValuC+187], acc106 // copy acc to vreg[86]
v_accvgpr_read_b32 v[vgprValuC+189], acc122 // copy acc to vreg[87]
v_accvgpr_read_b32 v[vgprValuC+191], acc11 // copy acc to vreg[88]
v_accvgpr_read_b32 v[vgprValuC+193], acc27 // copy acc to vreg[89]
v_accvgpr_read_b32 v[vgprValuC+195], acc43 // copy acc to vreg[90]
v_accvgpr_read_b32 v[vgprValuC+197], acc59 // copy acc to vreg[91]
v_accvgpr_read_b32 v[vgprValuC+199], acc75 // copy acc to vreg[92]
v_accvgpr_read_b32 v[vgprValuC+201], acc91 // copy acc to vreg[93]
v_accvgpr_read_b32 v[vgprValuC+203], acc107 // copy acc to vreg[94]
v_accvgpr_read_b32 v[vgprValuC+205], acc123 // copy acc to vreg[95]
v_accvgpr_read_b32 v[vgprValuC+207], acc12 // copy acc to vreg[96]
v_accvgpr_read_b32 v[vgprValuC+209], acc28 // copy acc to vreg[97]
v_accvgpr_read_b32 v[vgprValuC+211], acc44 // copy acc to vreg[98]
v_accvgpr_read_b32 v[vgprValuC+213], acc60 // copy acc to vreg[99]
v_accvgpr_read_b32 v[vgprValuC+215], acc76 // copy acc to vreg[100]
v_accvgpr_read_b32 v[vgprValuC+217], acc92 // copy acc to vreg[101]
v_accvgpr_read_b32 v[vgprValuC+219], acc108 // copy acc to vreg[102]
v_accvgpr_read_b32 v[vgprValuC+221], acc124 // copy acc to vreg[103]
v_accvgpr_read_b32 v[vgprValuC+223], acc13 // copy acc to vreg[104]
v_accvgpr_read_b32 v[vgprValuC+225], acc29 // copy acc to vreg[105]
v_accvgpr_read_b32 v[vgprValuC+227], acc45 // copy acc to vreg[106]
v_accvgpr_read_b32 v[vgprValuC+229], acc61 // copy acc to vreg[107]
v_accvgpr_read_b32 v[vgprValuC+231], acc77 // copy acc to vreg[108]
v_accvgpr_read_b32 v[vgprValuC+233], acc93 // copy acc to vreg[109]
v_accvgpr_read_b32 v[vgprValuC+235], acc109 // copy acc to vreg[110]
v_accvgpr_read_b32 v[vgprValuC+237], acc125 // copy acc to vreg[111]
v_accvgpr_read_b32 v[vgprValuC+239], acc14 // copy acc to vreg[112]
v_accvgpr_read_b32 v[vgprValuC+241], acc30 // copy acc to vreg[113]
v_accvgpr_read_b32 v[vgprValuC+243], acc46 // copy acc to vreg[114]
v_accvgpr_read_b32 v[vgprValuC+245], acc62 // copy acc to vreg[115]
v_accvgpr_read_b32 v[vgprValuC+247], acc78 // copy acc to vreg[116]
v_accvgpr_read_b32 v[vgprValuC+249], acc94 // copy acc to vreg[117]
v_accvgpr_read_b32 v[vgprValuC+251], acc110 // copy acc to vreg[118]
v_accvgpr_read_b32 v[vgprValuC+253], acc126 // copy acc to vreg[119]
s_nop 1                                            // 2 wait states required before reading vgpr

/* rC *= alpha batchElements=[(0, 0, 0, 0), (0, 1, 0, 0), (0, 2, 0, 0), (0, 3, 0, 0), (0, 4, 0, 0), (0, 5, 0, 0), (0, 6, 0, 0), (0, 7, 0, 0), (0, 0, 1, 0), (0, 1, 1, 0), (0, 2, 1, 0), (0, 3, 1, 0), (0, 4, 1, 0), (0, 5, 1, 0), (0, 6, 1, 0), (0, 7, 1, 0), (0, 0, 2, 0), (0, 1, 2, 0), (0, 2, 2, 0), (0, 3, 2, 0), (0, 4, 2, 0), (0, 5, 2, 0), (0, 6, 2, 0), (0, 7, 2, 0), (0, 0, 3, 0), (0, 1, 3, 0), (0, 2, 3, 0), (0, 3, 3, 0), (0, 4, 3, 0), (0, 5, 3, 0), (0, 6, 3, 0), (0, 7, 3, 0), (1, 0, 0, 0), (1, 1, 0, 0), (1, 2, 0, 0), (1, 3, 0, 0), (1, 4, 0, 0), (1, 5, 0, 0), (1, 6, 0, 0), (1, 7, 0, 0), (1, 0, 1, 0), (1, 1, 1, 0), (1, 2, 1, 0), (1, 3, 1, 0), (1, 4, 1, 0), (1, 5, 1, 0), (1, 6, 1, 0), (1, 7, 1, 0), (1, 0, 2, 0), (1, 1, 2, 0), (1, 2, 2, 0), (1, 3, 2, 0), (1, 4, 2, 0), (1, 5, 2, 0), (1, 6, 2, 0), (1, 7, 2, 0), (1, 0, 3, 0), (1, 1, 3, 0), (1, 2, 3, 0), (1, 3, 3, 0), (1, 4, 3, 0), (1, 5, 3, 0), (1, 6, 3, 0), (1, 7, 3, 0), (2, 0, 0, 0), (2, 1, 0, 0), (2, 2, 0, 0), (2, 3, 0, 0), (2, 4, 0, 0), (2, 5, 0, 0), (2, 6, 0, 0), (2, 7, 0, 0), (2, 0, 1, 0), (2, 1, 1, 0), (2, 2, 1, 0), (2, 3, 1, 0), (2, 4, 1, 0), (2, 5, 1, 0), (2, 6, 1, 0), (2, 7, 1, 0), (2, 0, 2, 0), (2, 1, 2, 0), (2, 2, 2, 0), (2, 3, 2, 0), (2, 4, 2, 0), (2, 5, 2, 0), (2, 6, 2, 0), (2, 7, 2, 0), (2, 0, 3, 0), (2, 1, 3, 0), (2, 2, 3, 0), (2, 3, 3, 0), (2, 4, 3, 0), (2, 5, 3, 0), (2, 6, 3, 0), (2, 7, 3, 0), (3, 0, 0, 0), (3, 1, 0, 0), (3, 2, 0, 0), (3, 3, 0, 0), (3, 4, 0, 0), (3, 5, 0, 0), (3, 6, 0, 0), (3, 7, 0, 0), (3, 0, 1, 0), (3, 1, 1, 0), (3, 2, 1, 0), (3, 3, 1, 0), (3, 4, 1, 0), (3, 5, 1, 0), (3, 6, 1, 0), (3, 7, 1, 0), (3, 0, 2, 0), (3, 1, 2, 0), (3, 2, 2, 0), (3, 3, 2, 0), (3, 4, 2, 0), (3, 5, 2, 0), (3, 6, 2, 0), (3, 7, 2, 0)] */
v_mul_f32 v[vgprValuC+12], s[sgprAlpha], v[vgprValuC+12] // *= alpha
v_mul_f32 v[vgprValuC+14], s[sgprAlpha], v[vgprValuC+14] // *= alpha
	;; [unrolled: 1-line block ×120, first 2 shown]

/* apply mask, calc new C and issue writes */
v_mov_b32 v10, 0x207                               // flag for Nan and +/- inf
v_mov_b32 v8, 0x47600000                           // save 57344.0f as max for clipping
v_mov_b32 v9, 0xC7600000                           // save -57344`.0f as min for clipping
v_cmp_class_f32 s[52:53], v[vgprValuC+12], v10     // check NaN and +/-INF
v_med3_f32 v6, v[vgprValuC+12], v8, v9             // Clipping f32 value if exceeds the limit
v_cndmask_b32 v6, v6, v[vgprValuC+12], s[52:53]    // 
v_cvt_pk_bf8_f32  v12, v6, v6                      // convert f32 accumulated values to fp8
buffer_store_byte v12, v11, s[sgprSrdD:sgprSrdD+3], 0, offen, offset:0,  sc0 sc1 // store D
v_cmp_class_f32 s[52:53], v[vgprValuC+14], v10     // check NaN and +/-INF
v_med3_f32 v6, v[vgprValuC+14], v8, v9             // Clipping f32 value if exceeds the limit
v_cndmask_b32 v6, v6, v[vgprValuC+14], s[52:53]    // 
v_cvt_pk_bf8_f32  v14, v6, v6                      // convert f32 accumulated values to fp8
buffer_store_byte v14, v13, s[sgprSrdD:sgprSrdD+3], 0, offen, offset:0,  sc0 sc1 // store D
	;; [unrolled: 5-line block ×44, first 2 shown]
v_cmp_class_f32 s[52:53], v[vgprValuC+100], v10    // check NaN and +/-INF
v_med3_f32 v6, v[vgprValuC+100], v8, v9            // Clipping f32 value if exceeds the limit
v_cndmask_b32 v6, v6, v[vgprValuC+100], s[52:53]   // 
v_cvt_pk_bf8_f32  v100, v6, v6                     // convert f32 accumulated values to fp8
buffer_store_byte v100, v99, s[sgprSrdD:sgprSrdD+3], 0, offen, offset:0,  sc0 sc1 // store D
v_cmp_class_f32 s[52:53], v[vgprValuC+102], v10    // check NaN and +/-INF
v_med3_f32 v6, v[vgprValuC+102], v8, v9            // Clipping f32 value if exceeds the limit
v_cndmask_b32 v6, v6, v[vgprValuC+102], s[52:53]   // 
v_cvt_pk_bf8_f32  v102, v6, v6                     // convert f32 accumulated values to fp8
buffer_store_byte v102, v101, s[sgprSrdD:sgprSrdD+3], 0, offen, offset:0,  sc0 sc1 // store D
	;; [unrolled: 5-line block ×76, first 2 shown]
s_nop 0                                            // 1 wait state required when next inst writes vgprs held by previous dwordx4 store inst
/* optSingleColVgpr=0 optSharedColVgpr=0 optSGPRUsage=BufferLoad_Edge_Mask optSrdIncForRow=0 */
s_sleep 3 // optimization: sync and wait
s_barrier

/******************************************/
/* Global Write Alpha Edge Batch #1 (d1,d0,vc1,vc0) = */
/*    (3,0,3,0:vw1); (3,1,3,0:vw1); (3,2,3,0:vw1); (3,3,3,0:vw1); (3,4,3,0:vw1); (3,5,3,0:vw1); (3,6,3,0:vw1); (3,7,3,0:vw1); (4,0,0,0:vw1); (4,1,0,0:vw1); (4,2,0,0:vw1); (4,3,0,0:vw1); (4,4,0,0:vw1); (4,5,0,0:vw1); (4,6,0,0:vw1); (4,7,0,0:vw1); (4,0,1,0:vw1); (4,1,1,0:vw1); (4,2,1,0:vw1); (4,3,1,0:vw1); (4,4,1,0:vw1); (4,5,1,0:vw1); (4,6,1,0:vw1); (4,7,1,0:vw1); (4,0,2,0:vw1); (4,1,2,0:vw1); (4,2,2,0:vw1); (4,3,2,0:vw1); (4,4,2,0:vw1); (4,5,2,0:vw1); (4,6,2,0:vw1); (4,7,2,0:vw1); (4,0,3,0:vw1); (4,1,3,0:vw1); (4,2,3,0:vw1); (4,3,3,0:vw1); (4,4,3,0:vw1); (4,5,3,0:vw1); (4,6,3,0:vw1); (4,7,3,0:vw1); (5,0,0,0:vw1); (5,1,0,0:vw1); (5,2,0,0:vw1); (5,3,0,0:vw1); (5,4,0,0:vw1); (5,5,0,0:vw1); (5,6,0,0:vw1); (5,7,0,0:vw1); (5,0,1,0:vw1); (5,1,1,0:vw1); (5,2,1,0:vw1); (5,3,1,0:vw1); (5,4,1,0:vw1); (5,5,1,0:vw1); (5,6,1,0:vw1); (5,7,1,0:vw1); (5,0,2,0:vw1); (5,1,2,0:vw1); (5,2,2,0:vw1); (5,3,2,0:vw1); (5,4,2,0:vw1); (5,5,2,0:vw1); (5,6,2,0:vw1); (5,7,2,0:vw1); (5,0,3,0:vw1); (5,1,3,0:vw1); (5,2,3,0:vw1); (5,3,3,0:vw1); (5,4,3,0:vw1); (5,5,3,0:vw1); (5,6,3,0:vw1); (5,7,3,0:vw1); (6,0,0,0:vw1); (6,1,0,0:vw1); (6,2,0,0:vw1); (6,3,0,0:vw1); (6,4,0,0:vw1); (6,5,0,0:vw1); (6,6,0,0:vw1); (6,7,0,0:vw1); (6,0,1,0:vw1); (6,1,1,0:vw1); (6,2,1,0:vw1); (6,3,1,0:vw1); (6,4,1,0:vw1); (6,5,1,0:vw1); (6,6,1,0:vw1); (6,7,1,0:vw1); (6,0,2,0:vw1); (6,1,2,0:vw1); (6,2,2,0:vw1); (6,3,2,0:vw1); (6,4,2,0:vw1); (6,5,2,0:vw1); (6,6,2,0:vw1); (6,7,2,0:vw1); (6,0,3,0:vw1); (6,1,3,0:vw1); (6,2,3,0:vw1); (6,3,3,0:vw1); (6,4,3,0:vw1); (6,5,3,0:vw1); (6,6,3,0:vw1); (6,7,3,0:vw1); (7,0,0,0:vw1); (7,1,0,0:vw1); (7,2,0,0:vw1); (7,3,0,0:vw1); (7,4,0,0:vw1); (7,5,0,0:vw1); (7,6,0,0:vw1); (7,7,0,0:vw1); (7,0,1,0:vw1); (7,1,1,0:vw1); (7,2,1,0:vw1); (7,3,1,0:vw1); (7,4,1,0:vw1); (7,5,1,0:vw1); (7,6,1,0:vw1); (7,7,1,0:vw1) */
/******************************************/

/* calc coords, apply mask, and issue loads (if necessary) */
/* (d1,vc1,d0,vc0)=(3,3,0,0) */
_v_add_co_u32 v1, vcc, v1, 1                       // coord1.1: coord1Vgpr += d1*sg1*VW + vc1

/* Fix for UseInitialStridesCD, emitAddressSetupCode */
_v_add_u32 v2, v2, s[sgprStrideC1J]                // ROWINC- Move cinRowPtr to next row
_v_add_u32 v3, v3, s[sgprStrideD1J]                // Move coutRowPtr to next row
v_cmp_lt_u32 s[52:53], v0, s[sgprSizeI]            // coord0 < size0
v_cmp_lt_u32 s[56:57], v1, s[sgprSizeJ]            // coord1 < size1
s_and_b64 s[56:57], s[52:53], s[56:57]             // in0 && in1
_v_add_lshl_u32 v11, v3, v0, 0x0                   // scaleToBpe: accumulate d0 lower and *= bpe into Cin addr
v_cndmask_b32 v11, -1, v11, s[56:57]               // LDD clip if OOB. offset
/* (d1,vc1,d0,vc0)=(3,3,1,0) */
_v_add_co_u32 v4, vcc, v0, 32                      // coord0.1: coord0 += d0*sg0*VW + vc0
v_cmp_lt_u32 s[52:53], v4, s[sgprSizeI]            // coord0 < size0
v_cmp_lt_u32 s[56:57], v1, s[sgprSizeJ]            // coord1 < size1
s_and_b64 s[56:57], s[52:53], s[56:57]             // in0 && in1
_v_add_lshl_u32 v13, v3, v4, 0x0                   // scaleToBpe: accumulate d0 lower and *= bpe into Cin addr
v_cndmask_b32 v13, -1, v13, s[56:57]               // LDD clip if OOB. offset
/* (d1,vc1,d0,vc0)=(3,3,2,0) */
_v_add_co_u32 v4, vcc, v0, 64                      // coord0.1: coord0 += d0*sg0*VW + vc0
v_cmp_lt_u32 s[52:53], v4, s[sgprSizeI]            // coord0 < size0
v_cmp_lt_u32 s[56:57], v1, s[sgprSizeJ]            // coord1 < size1
s_and_b64 s[56:57], s[52:53], s[56:57]             // in0 && in1
_v_add_lshl_u32 v15, v3, v4, 0x0                   // scaleToBpe: accumulate d0 lower and *= bpe into Cin addr
v_cndmask_b32 v15, -1, v15, s[56:57]               // LDD clip if OOB. offset
/* (d1,vc1,d0,vc0)=(3,3,3,0) */
s_mov_b32 s52, 96                                  // coordOffset0 d0=3 vc0=0
_v_add_co_u32 v4, vcc, v0, s52                     // coord0.2: coord0 += d0*sg0*VW + vc0
v_cmp_lt_u32 s[52:53], v4, s[sgprSizeI]            // coord0 < size0
v_cmp_lt_u32 s[56:57], v1, s[sgprSizeJ]            // coord1 < size1
s_and_b64 s[56:57], s[52:53], s[56:57]             // in0 && in1
_v_add_lshl_u32 v17, v3, v4, 0x0                   // scaleToBpe: accumulate d0 lower and *= bpe into Cin addr
v_cndmask_b32 v17, -1, v17, s[56:57]               // LDD clip if OOB. offset
/* (d1,vc1,d0,vc0)=(3,3,4,0) */
s_mov_b32 s52, 128                                 // coordOffset0 d0=4 vc0=0
_v_add_co_u32 v4, vcc, v0, s52                     // coord0.2: coord0 += d0*sg0*VW + vc0
v_cmp_lt_u32 s[52:53], v4, s[sgprSizeI]            // coord0 < size0
v_cmp_lt_u32 s[56:57], v1, s[sgprSizeJ]            // coord1 < size1
s_and_b64 s[56:57], s[52:53], s[56:57]             // in0 && in1
_v_add_lshl_u32 v19, v3, v4, 0x0                   // scaleToBpe: accumulate d0 lower and *= bpe into Cin addr
v_cndmask_b32 v19, -1, v19, s[56:57]               // LDD clip if OOB. offset
/* (d1,vc1,d0,vc0)=(3,3,5,0) */
s_mov_b32 s52, 160                                 // coordOffset0 d0=5 vc0=0
	;; [unrolled: 8-line block ×4, first 2 shown]
_v_add_co_u32 v4, vcc, v0, s52                     // coord0.2: coord0 += d0*sg0*VW + vc0
v_cmp_lt_u32 s[52:53], v4, s[sgprSizeI]            // coord0 < size0
v_cmp_lt_u32 s[56:57], v1, s[sgprSizeJ]            // coord1 < size1
s_and_b64 s[56:57], s[52:53], s[56:57]             // in0 && in1
_v_add_lshl_u32 v25, v3, v4, 0x0                   // scaleToBpe: accumulate d0 lower and *= bpe into Cin addr
v_cndmask_b32 v25, -1, v25, s[56:57]               // LDD clip if OOB. offset
/* (d1,vc1,d0,vc0)=(4,0,0,0) */
s_mov_b32 s52, 101                                 // rowInc d1=0 vc1=0
_v_add_co_u32 v1, vcc, v1, s52                     // coord1.2: coord1 += d1*sg1*VW + vc1

/* Fix for UseInitialStridesCD, emitAddressSetupCode */
s_mul_i32 s52, s[sgprStrideC1J], 101               // scale stride
_v_add_u32 v2, v2, s52                             // ROWINC- Move cinRowPtr to next row
s_mul_i32 s52, s[sgprStrideD1J], 101               // scale stride
_v_add_u32 v3, v3, s52                             // Move coutRowPtr to next row
v_cmp_lt_u32 s[52:53], v0, s[sgprSizeI]            // coord0 < size0
v_cmp_lt_u32 s[56:57], v1, s[sgprSizeJ]            // coord1 < size1
s_and_b64 s[56:57], s[52:53], s[56:57]             // in0 && in1
_v_add_lshl_u32 v27, v3, v0, 0x0                   // scaleToBpe: accumulate d0 lower and *= bpe into Cin addr
v_cndmask_b32 v27, -1, v27, s[56:57]               // LDD clip if OOB. offset
/* (d1,vc1,d0,vc0)=(4,0,1,0) */
_v_add_co_u32 v4, vcc, v0, 32                      // coord0.1: coord0 += d0*sg0*VW + vc0
v_cmp_lt_u32 s[52:53], v4, s[sgprSizeI]            // coord0 < size0
v_cmp_lt_u32 s[56:57], v1, s[sgprSizeJ]            // coord1 < size1
s_and_b64 s[56:57], s[52:53], s[56:57]             // in0 && in1
_v_add_lshl_u32 v29, v3, v4, 0x0                   // scaleToBpe: accumulate d0 lower and *= bpe into Cin addr
v_cndmask_b32 v29, -1, v29, s[56:57]               // LDD clip if OOB. offset
/* (d1,vc1,d0,vc0)=(4,0,2,0) */
_v_add_co_u32 v4, vcc, v0, 64                      // coord0.1: coord0 += d0*sg0*VW + vc0
v_cmp_lt_u32 s[52:53], v4, s[sgprSizeI]            // coord0 < size0
v_cmp_lt_u32 s[56:57], v1, s[sgprSizeJ]            // coord1 < size1
s_and_b64 s[56:57], s[52:53], s[56:57]             // in0 && in1
_v_add_lshl_u32 v31, v3, v4, 0x0                   // scaleToBpe: accumulate d0 lower and *= bpe into Cin addr
v_cndmask_b32 v31, -1, v31, s[56:57]               // LDD clip if OOB. offset
/* (d1,vc1,d0,vc0)=(4,0,3,0) */
s_mov_b32 s52, 96                                  // coordOffset0 d0=3 vc0=0
_v_add_co_u32 v4, vcc, v0, s52                     // coord0.2: coord0 += d0*sg0*VW + vc0
v_cmp_lt_u32 s[52:53], v4, s[sgprSizeI]            // coord0 < size0
v_cmp_lt_u32 s[56:57], v1, s[sgprSizeJ]            // coord1 < size1
s_and_b64 s[56:57], s[52:53], s[56:57]             // in0 && in1
_v_add_lshl_u32 v33, v3, v4, 0x0                   // scaleToBpe: accumulate d0 lower and *= bpe into Cin addr
v_cndmask_b32 v33, -1, v33, s[56:57]               // LDD clip if OOB. offset
/* (d1,vc1,d0,vc0)=(4,0,4,0) */
s_mov_b32 s52, 128                                 // coordOffset0 d0=4 vc0=0
_v_add_co_u32 v4, vcc, v0, s52                     // coord0.2: coord0 += d0*sg0*VW + vc0
v_cmp_lt_u32 s[52:53], v4, s[sgprSizeI]            // coord0 < size0
v_cmp_lt_u32 s[56:57], v1, s[sgprSizeJ]            // coord1 < size1
s_and_b64 s[56:57], s[52:53], s[56:57]             // in0 && in1
_v_add_lshl_u32 v35, v3, v4, 0x0                   // scaleToBpe: accumulate d0 lower and *= bpe into Cin addr
v_cndmask_b32 v35, -1, v35, s[56:57]               // LDD clip if OOB. offset
/* (d1,vc1,d0,vc0)=(4,0,5,0) */
s_mov_b32 s52, 160                                 // coordOffset0 d0=5 vc0=0
	;; [unrolled: 8-line block ×4, first 2 shown]
_v_add_co_u32 v4, vcc, v0, s52                     // coord0.2: coord0 += d0*sg0*VW + vc0
v_cmp_lt_u32 s[52:53], v4, s[sgprSizeI]            // coord0 < size0
v_cmp_lt_u32 s[56:57], v1, s[sgprSizeJ]            // coord1 < size1
s_and_b64 s[56:57], s[52:53], s[56:57]             // in0 && in1
_v_add_lshl_u32 v41, v3, v4, 0x0                   // scaleToBpe: accumulate d0 lower and *= bpe into Cin addr
v_cndmask_b32 v41, -1, v41, s[56:57]               // LDD clip if OOB. offset
/* (d1,vc1,d0,vc0)=(4,1,0,0) */
_v_add_co_u32 v1, vcc, v1, 1                       // coord1.1: coord1Vgpr += d1*sg1*VW + vc1

/* Fix for UseInitialStridesCD, emitAddressSetupCode */
_v_add_u32 v2, v2, s[sgprStrideC1J]                // ROWINC- Move cinRowPtr to next row
_v_add_u32 v3, v3, s[sgprStrideD1J]                // Move coutRowPtr to next row
v_cmp_lt_u32 s[52:53], v0, s[sgprSizeI]            // coord0 < size0
v_cmp_lt_u32 s[56:57], v1, s[sgprSizeJ]            // coord1 < size1
s_and_b64 s[56:57], s[52:53], s[56:57]             // in0 && in1
_v_add_lshl_u32 v43, v3, v0, 0x0                   // scaleToBpe: accumulate d0 lower and *= bpe into Cin addr
v_cndmask_b32 v43, -1, v43, s[56:57]               // LDD clip if OOB. offset
/* (d1,vc1,d0,vc0)=(4,1,1,0) */
_v_add_co_u32 v4, vcc, v0, 32                      // coord0.1: coord0 += d0*sg0*VW + vc0
v_cmp_lt_u32 s[52:53], v4, s[sgprSizeI]            // coord0 < size0
v_cmp_lt_u32 s[56:57], v1, s[sgprSizeJ]            // coord1 < size1
s_and_b64 s[56:57], s[52:53], s[56:57]             // in0 && in1
_v_add_lshl_u32 v45, v3, v4, 0x0                   // scaleToBpe: accumulate d0 lower and *= bpe into Cin addr
v_cndmask_b32 v45, -1, v45, s[56:57]               // LDD clip if OOB. offset
/* (d1,vc1,d0,vc0)=(4,1,2,0) */
_v_add_co_u32 v4, vcc, v0, 64                      // coord0.1: coord0 += d0*sg0*VW + vc0
v_cmp_lt_u32 s[52:53], v4, s[sgprSizeI]            // coord0 < size0
v_cmp_lt_u32 s[56:57], v1, s[sgprSizeJ]            // coord1 < size1
s_and_b64 s[56:57], s[52:53], s[56:57]             // in0 && in1
_v_add_lshl_u32 v47, v3, v4, 0x0                   // scaleToBpe: accumulate d0 lower and *= bpe into Cin addr
v_cndmask_b32 v47, -1, v47, s[56:57]               // LDD clip if OOB. offset
/* (d1,vc1,d0,vc0)=(4,1,3,0) */
s_mov_b32 s52, 96                                  // coordOffset0 d0=3 vc0=0
_v_add_co_u32 v4, vcc, v0, s52                     // coord0.2: coord0 += d0*sg0*VW + vc0
v_cmp_lt_u32 s[52:53], v4, s[sgprSizeI]            // coord0 < size0
v_cmp_lt_u32 s[56:57], v1, s[sgprSizeJ]            // coord1 < size1
s_and_b64 s[56:57], s[52:53], s[56:57]             // in0 && in1
_v_add_lshl_u32 v49, v3, v4, 0x0                   // scaleToBpe: accumulate d0 lower and *= bpe into Cin addr
v_cndmask_b32 v49, -1, v49, s[56:57]               // LDD clip if OOB. offset
/* (d1,vc1,d0,vc0)=(4,1,4,0) */
s_mov_b32 s52, 128                                 // coordOffset0 d0=4 vc0=0
_v_add_co_u32 v4, vcc, v0, s52                     // coord0.2: coord0 += d0*sg0*VW + vc0
v_cmp_lt_u32 s[52:53], v4, s[sgprSizeI]            // coord0 < size0
v_cmp_lt_u32 s[56:57], v1, s[sgprSizeJ]            // coord1 < size1
s_and_b64 s[56:57], s[52:53], s[56:57]             // in0 && in1
_v_add_lshl_u32 v51, v3, v4, 0x0                   // scaleToBpe: accumulate d0 lower and *= bpe into Cin addr
v_cndmask_b32 v51, -1, v51, s[56:57]               // LDD clip if OOB. offset
/* (d1,vc1,d0,vc0)=(4,1,5,0) */
s_mov_b32 s52, 160                                 // coordOffset0 d0=5 vc0=0
	;; [unrolled: 8-line block ×4, first 2 shown]
_v_add_co_u32 v4, vcc, v0, s52                     // coord0.2: coord0 += d0*sg0*VW + vc0
v_cmp_lt_u32 s[52:53], v4, s[sgprSizeI]            // coord0 < size0
v_cmp_lt_u32 s[56:57], v1, s[sgprSizeJ]            // coord1 < size1
s_and_b64 s[56:57], s[52:53], s[56:57]             // in0 && in1
_v_add_lshl_u32 v57, v3, v4, 0x0                   // scaleToBpe: accumulate d0 lower and *= bpe into Cin addr
v_cndmask_b32 v57, -1, v57, s[56:57]               // LDD clip if OOB. offset
/* (d1,vc1,d0,vc0)=(4,2,0,0) */
_v_add_co_u32 v1, vcc, v1, 1                       // coord1.1: coord1Vgpr += d1*sg1*VW + vc1

/* Fix for UseInitialStridesCD, emitAddressSetupCode */
_v_add_u32 v2, v2, s[sgprStrideC1J]                // ROWINC- Move cinRowPtr to next row
_v_add_u32 v3, v3, s[sgprStrideD1J]                // Move coutRowPtr to next row
v_cmp_lt_u32 s[52:53], v0, s[sgprSizeI]            // coord0 < size0
v_cmp_lt_u32 s[56:57], v1, s[sgprSizeJ]            // coord1 < size1
s_and_b64 s[56:57], s[52:53], s[56:57]             // in0 && in1
_v_add_lshl_u32 v59, v3, v0, 0x0                   // scaleToBpe: accumulate d0 lower and *= bpe into Cin addr
v_cndmask_b32 v59, -1, v59, s[56:57]               // LDD clip if OOB. offset
/* (d1,vc1,d0,vc0)=(4,2,1,0) */
_v_add_co_u32 v4, vcc, v0, 32                      // coord0.1: coord0 += d0*sg0*VW + vc0
v_cmp_lt_u32 s[52:53], v4, s[sgprSizeI]            // coord0 < size0
v_cmp_lt_u32 s[56:57], v1, s[sgprSizeJ]            // coord1 < size1
s_and_b64 s[56:57], s[52:53], s[56:57]             // in0 && in1
_v_add_lshl_u32 v61, v3, v4, 0x0                   // scaleToBpe: accumulate d0 lower and *= bpe into Cin addr
v_cndmask_b32 v61, -1, v61, s[56:57]               // LDD clip if OOB. offset
/* (d1,vc1,d0,vc0)=(4,2,2,0) */
_v_add_co_u32 v4, vcc, v0, 64                      // coord0.1: coord0 += d0*sg0*VW + vc0
v_cmp_lt_u32 s[52:53], v4, s[sgprSizeI]            // coord0 < size0
v_cmp_lt_u32 s[56:57], v1, s[sgprSizeJ]            // coord1 < size1
s_and_b64 s[56:57], s[52:53], s[56:57]             // in0 && in1
_v_add_lshl_u32 v63, v3, v4, 0x0                   // scaleToBpe: accumulate d0 lower and *= bpe into Cin addr
v_cndmask_b32 v63, -1, v63, s[56:57]               // LDD clip if OOB. offset
/* (d1,vc1,d0,vc0)=(4,2,3,0) */
s_mov_b32 s52, 96                                  // coordOffset0 d0=3 vc0=0
_v_add_co_u32 v4, vcc, v0, s52                     // coord0.2: coord0 += d0*sg0*VW + vc0
v_cmp_lt_u32 s[52:53], v4, s[sgprSizeI]            // coord0 < size0
v_cmp_lt_u32 s[56:57], v1, s[sgprSizeJ]            // coord1 < size1
s_and_b64 s[56:57], s[52:53], s[56:57]             // in0 && in1
_v_add_lshl_u32 v65, v3, v4, 0x0                   // scaleToBpe: accumulate d0 lower and *= bpe into Cin addr
v_cndmask_b32 v65, -1, v65, s[56:57]               // LDD clip if OOB. offset
/* (d1,vc1,d0,vc0)=(4,2,4,0) */
s_mov_b32 s52, 128                                 // coordOffset0 d0=4 vc0=0
_v_add_co_u32 v4, vcc, v0, s52                     // coord0.2: coord0 += d0*sg0*VW + vc0
v_cmp_lt_u32 s[52:53], v4, s[sgprSizeI]            // coord0 < size0
v_cmp_lt_u32 s[56:57], v1, s[sgprSizeJ]            // coord1 < size1
s_and_b64 s[56:57], s[52:53], s[56:57]             // in0 && in1
_v_add_lshl_u32 v67, v3, v4, 0x0                   // scaleToBpe: accumulate d0 lower and *= bpe into Cin addr
v_cndmask_b32 v67, -1, v67, s[56:57]               // LDD clip if OOB. offset
/* (d1,vc1,d0,vc0)=(4,2,5,0) */
s_mov_b32 s52, 160                                 // coordOffset0 d0=5 vc0=0
	;; [unrolled: 8-line block ×4, first 2 shown]
_v_add_co_u32 v4, vcc, v0, s52                     // coord0.2: coord0 += d0*sg0*VW + vc0
v_cmp_lt_u32 s[52:53], v4, s[sgprSizeI]            // coord0 < size0
v_cmp_lt_u32 s[56:57], v1, s[sgprSizeJ]            // coord1 < size1
s_and_b64 s[56:57], s[52:53], s[56:57]             // in0 && in1
_v_add_lshl_u32 v73, v3, v4, 0x0                   // scaleToBpe: accumulate d0 lower and *= bpe into Cin addr
v_cndmask_b32 v73, -1, v73, s[56:57]               // LDD clip if OOB. offset
/* (d1,vc1,d0,vc0)=(4,3,0,0) */
_v_add_co_u32 v1, vcc, v1, 1                       // coord1.1: coord1Vgpr += d1*sg1*VW + vc1

/* Fix for UseInitialStridesCD, emitAddressSetupCode */
_v_add_u32 v2, v2, s[sgprStrideC1J]                // ROWINC- Move cinRowPtr to next row
_v_add_u32 v3, v3, s[sgprStrideD1J]                // Move coutRowPtr to next row
v_cmp_lt_u32 s[52:53], v0, s[sgprSizeI]            // coord0 < size0
v_cmp_lt_u32 s[56:57], v1, s[sgprSizeJ]            // coord1 < size1
s_and_b64 s[56:57], s[52:53], s[56:57]             // in0 && in1
_v_add_lshl_u32 v75, v3, v0, 0x0                   // scaleToBpe: accumulate d0 lower and *= bpe into Cin addr
v_cndmask_b32 v75, -1, v75, s[56:57]               // LDD clip if OOB. offset
/* (d1,vc1,d0,vc0)=(4,3,1,0) */
_v_add_co_u32 v4, vcc, v0, 32                      // coord0.1: coord0 += d0*sg0*VW + vc0
v_cmp_lt_u32 s[52:53], v4, s[sgprSizeI]            // coord0 < size0
v_cmp_lt_u32 s[56:57], v1, s[sgprSizeJ]            // coord1 < size1
s_and_b64 s[56:57], s[52:53], s[56:57]             // in0 && in1
_v_add_lshl_u32 v77, v3, v4, 0x0                   // scaleToBpe: accumulate d0 lower and *= bpe into Cin addr
v_cndmask_b32 v77, -1, v77, s[56:57]               // LDD clip if OOB. offset
/* (d1,vc1,d0,vc0)=(4,3,2,0) */
_v_add_co_u32 v4, vcc, v0, 64                      // coord0.1: coord0 += d0*sg0*VW + vc0
v_cmp_lt_u32 s[52:53], v4, s[sgprSizeI]            // coord0 < size0
v_cmp_lt_u32 s[56:57], v1, s[sgprSizeJ]            // coord1 < size1
s_and_b64 s[56:57], s[52:53], s[56:57]             // in0 && in1
_v_add_lshl_u32 v79, v3, v4, 0x0                   // scaleToBpe: accumulate d0 lower and *= bpe into Cin addr
v_cndmask_b32 v79, -1, v79, s[56:57]               // LDD clip if OOB. offset
/* (d1,vc1,d0,vc0)=(4,3,3,0) */
s_mov_b32 s52, 96                                  // coordOffset0 d0=3 vc0=0
_v_add_co_u32 v4, vcc, v0, s52                     // coord0.2: coord0 += d0*sg0*VW + vc0
v_cmp_lt_u32 s[52:53], v4, s[sgprSizeI]            // coord0 < size0
v_cmp_lt_u32 s[56:57], v1, s[sgprSizeJ]            // coord1 < size1
s_and_b64 s[56:57], s[52:53], s[56:57]             // in0 && in1
_v_add_lshl_u32 v81, v3, v4, 0x0                   // scaleToBpe: accumulate d0 lower and *= bpe into Cin addr
v_cndmask_b32 v81, -1, v81, s[56:57]               // LDD clip if OOB. offset
/* (d1,vc1,d0,vc0)=(4,3,4,0) */
s_mov_b32 s52, 128                                 // coordOffset0 d0=4 vc0=0
_v_add_co_u32 v4, vcc, v0, s52                     // coord0.2: coord0 += d0*sg0*VW + vc0
v_cmp_lt_u32 s[52:53], v4, s[sgprSizeI]            // coord0 < size0
v_cmp_lt_u32 s[56:57], v1, s[sgprSizeJ]            // coord1 < size1
s_and_b64 s[56:57], s[52:53], s[56:57]             // in0 && in1
_v_add_lshl_u32 v83, v3, v4, 0x0                   // scaleToBpe: accumulate d0 lower and *= bpe into Cin addr
v_cndmask_b32 v83, -1, v83, s[56:57]               // LDD clip if OOB. offset
/* (d1,vc1,d0,vc0)=(4,3,5,0) */
s_mov_b32 s52, 160                                 // coordOffset0 d0=5 vc0=0
	;; [unrolled: 8-line block ×4, first 2 shown]
_v_add_co_u32 v4, vcc, v0, s52                     // coord0.2: coord0 += d0*sg0*VW + vc0
v_cmp_lt_u32 s[52:53], v4, s[sgprSizeI]            // coord0 < size0
v_cmp_lt_u32 s[56:57], v1, s[sgprSizeJ]            // coord1 < size1
s_and_b64 s[56:57], s[52:53], s[56:57]             // in0 && in1
_v_add_lshl_u32 v89, v3, v4, 0x0                   // scaleToBpe: accumulate d0 lower and *= bpe into Cin addr
v_cndmask_b32 v89, -1, v89, s[56:57]               // LDD clip if OOB. offset
/* (d1,vc1,d0,vc0)=(5,0,0,0) */
_v_add_co_u32 v1, vcc, v1, 5                       // coord1.1: coord1Vgpr += d1*sg1*VW + vc1

/* Fix for UseInitialStridesCD, emitAddressSetupCode */
s_mul_i32 s52, s[sgprStrideC1J], 5                 // scale stride
_v_add_u32 v2, v2, s52                             // ROWINC- Move cinRowPtr to next row
s_mul_i32 s52, s[sgprStrideD1J], 5                 // scale stride
_v_add_u32 v3, v3, s52                             // Move coutRowPtr to next row
v_cmp_lt_u32 s[52:53], v0, s[sgprSizeI]            // coord0 < size0
v_cmp_lt_u32 s[56:57], v1, s[sgprSizeJ]            // coord1 < size1
s_and_b64 s[56:57], s[52:53], s[56:57]             // in0 && in1
_v_add_lshl_u32 v91, v3, v0, 0x0                   // scaleToBpe: accumulate d0 lower and *= bpe into Cin addr
v_cndmask_b32 v91, -1, v91, s[56:57]               // LDD clip if OOB. offset
/* (d1,vc1,d0,vc0)=(5,0,1,0) */
_v_add_co_u32 v4, vcc, v0, 32                      // coord0.1: coord0 += d0*sg0*VW + vc0
v_cmp_lt_u32 s[52:53], v4, s[sgprSizeI]            // coord0 < size0
v_cmp_lt_u32 s[56:57], v1, s[sgprSizeJ]            // coord1 < size1
s_and_b64 s[56:57], s[52:53], s[56:57]             // in0 && in1
_v_add_lshl_u32 v93, v3, v4, 0x0                   // scaleToBpe: accumulate d0 lower and *= bpe into Cin addr
v_cndmask_b32 v93, -1, v93, s[56:57]               // LDD clip if OOB. offset
/* (d1,vc1,d0,vc0)=(5,0,2,0) */
_v_add_co_u32 v4, vcc, v0, 64                      // coord0.1: coord0 += d0*sg0*VW + vc0
v_cmp_lt_u32 s[52:53], v4, s[sgprSizeI]            // coord0 < size0
v_cmp_lt_u32 s[56:57], v1, s[sgprSizeJ]            // coord1 < size1
s_and_b64 s[56:57], s[52:53], s[56:57]             // in0 && in1
_v_add_lshl_u32 v95, v3, v4, 0x0                   // scaleToBpe: accumulate d0 lower and *= bpe into Cin addr
v_cndmask_b32 v95, -1, v95, s[56:57]               // LDD clip if OOB. offset
/* (d1,vc1,d0,vc0)=(5,0,3,0) */
s_mov_b32 s52, 96                                  // coordOffset0 d0=3 vc0=0
_v_add_co_u32 v4, vcc, v0, s52                     // coord0.2: coord0 += d0*sg0*VW + vc0
v_cmp_lt_u32 s[52:53], v4, s[sgprSizeI]            // coord0 < size0
v_cmp_lt_u32 s[56:57], v1, s[sgprSizeJ]            // coord1 < size1
s_and_b64 s[56:57], s[52:53], s[56:57]             // in0 && in1
_v_add_lshl_u32 v97, v3, v4, 0x0                   // scaleToBpe: accumulate d0 lower and *= bpe into Cin addr
v_cndmask_b32 v97, -1, v97, s[56:57]               // LDD clip if OOB. offset
/* (d1,vc1,d0,vc0)=(5,0,4,0) */
s_mov_b32 s52, 128                                 // coordOffset0 d0=4 vc0=0
_v_add_co_u32 v4, vcc, v0, s52                     // coord0.2: coord0 += d0*sg0*VW + vc0
v_cmp_lt_u32 s[52:53], v4, s[sgprSizeI]            // coord0 < size0
v_cmp_lt_u32 s[56:57], v1, s[sgprSizeJ]            // coord1 < size1
s_and_b64 s[56:57], s[52:53], s[56:57]             // in0 && in1
_v_add_lshl_u32 v99, v3, v4, 0x0                   // scaleToBpe: accumulate d0 lower and *= bpe into Cin addr
v_cndmask_b32 v99, -1, v99, s[56:57]               // LDD clip if OOB. offset
/* (d1,vc1,d0,vc0)=(5,0,5,0) */
s_mov_b32 s52, 160                                 // coordOffset0 d0=5 vc0=0
_v_add_co_u32 v4, vcc, v0, s52                     // coord0.2: coord0 += d0*sg0*VW + vc0
v_cmp_lt_u32 s[52:53], v4, s[sgprSizeI]            // coord0 < size0
v_cmp_lt_u32 s[56:57], v1, s[sgprSizeJ]            // coord1 < size1
s_and_b64 s[56:57], s[52:53], s[56:57]             // in0 && in1
_v_add_lshl_u32 v101, v3, v4, 0x0                  // scaleToBpe: accumulate d0 lower and *= bpe into Cin addr
v_cndmask_b32 v101, -1, v101, s[56:57]             // LDD clip if OOB. offset
/* (d1,vc1,d0,vc0)=(5,0,6,0) */
s_mov_b32 s52, 192                                 // coordOffset0 d0=6 vc0=0
_v_add_co_u32 v4, vcc, v0, s52                     // coord0.2: coord0 += d0*sg0*VW + vc0
v_cmp_lt_u32 s[52:53], v4, s[sgprSizeI]            // coord0 < size0
v_cmp_lt_u32 s[56:57], v1, s[sgprSizeJ]            // coord1 < size1
s_and_b64 s[56:57], s[52:53], s[56:57]             // in0 && in1
_v_add_lshl_u32 v103, v3, v4, 0x0                  // scaleToBpe: accumulate d0 lower and *= bpe into Cin addr
v_cndmask_b32 v103, -1, v103, s[56:57]             // LDD clip if OOB. offset
	;; [unrolled: 8-line block ×3, first 2 shown]
/* (d1,vc1,d0,vc0)=(5,1,0,0) */
_v_add_co_u32 v1, vcc, v1, 1                       // coord1.1: coord1Vgpr += d1*sg1*VW + vc1

/* Fix for UseInitialStridesCD, emitAddressSetupCode */
_v_add_u32 v2, v2, s[sgprStrideC1J]                // ROWINC- Move cinRowPtr to next row
_v_add_u32 v3, v3, s[sgprStrideD1J]                // Move coutRowPtr to next row
v_cmp_lt_u32 s[52:53], v0, s[sgprSizeI]            // coord0 < size0
v_cmp_lt_u32 s[56:57], v1, s[sgprSizeJ]            // coord1 < size1
s_and_b64 s[56:57], s[52:53], s[56:57]             // in0 && in1
_v_add_lshl_u32 v107, v3, v0, 0x0                  // scaleToBpe: accumulate d0 lower and *= bpe into Cin addr
v_cndmask_b32 v107, -1, v107, s[56:57]             // LDD clip if OOB. offset
/* (d1,vc1,d0,vc0)=(5,1,1,0) */
_v_add_co_u32 v4, vcc, v0, 32                      // coord0.1: coord0 += d0*sg0*VW + vc0
v_cmp_lt_u32 s[52:53], v4, s[sgprSizeI]            // coord0 < size0
v_cmp_lt_u32 s[56:57], v1, s[sgprSizeJ]            // coord1 < size1
s_and_b64 s[56:57], s[52:53], s[56:57]             // in0 && in1
_v_add_lshl_u32 v109, v3, v4, 0x0                  // scaleToBpe: accumulate d0 lower and *= bpe into Cin addr
v_cndmask_b32 v109, -1, v109, s[56:57]             // LDD clip if OOB. offset
/* (d1,vc1,d0,vc0)=(5,1,2,0) */
_v_add_co_u32 v4, vcc, v0, 64                      // coord0.1: coord0 += d0*sg0*VW + vc0
v_cmp_lt_u32 s[52:53], v4, s[sgprSizeI]            // coord0 < size0
v_cmp_lt_u32 s[56:57], v1, s[sgprSizeJ]            // coord1 < size1
s_and_b64 s[56:57], s[52:53], s[56:57]             // in0 && in1
_v_add_lshl_u32 v111, v3, v4, 0x0                  // scaleToBpe: accumulate d0 lower and *= bpe into Cin addr
v_cndmask_b32 v111, -1, v111, s[56:57]             // LDD clip if OOB. offset
/* (d1,vc1,d0,vc0)=(5,1,3,0) */
s_mov_b32 s52, 96                                  // coordOffset0 d0=3 vc0=0
_v_add_co_u32 v4, vcc, v0, s52                     // coord0.2: coord0 += d0*sg0*VW + vc0
v_cmp_lt_u32 s[52:53], v4, s[sgprSizeI]            // coord0 < size0
v_cmp_lt_u32 s[56:57], v1, s[sgprSizeJ]            // coord1 < size1
s_and_b64 s[56:57], s[52:53], s[56:57]             // in0 && in1
_v_add_lshl_u32 v113, v3, v4, 0x0                  // scaleToBpe: accumulate d0 lower and *= bpe into Cin addr
v_cndmask_b32 v113, -1, v113, s[56:57]             // LDD clip if OOB. offset
/* (d1,vc1,d0,vc0)=(5,1,4,0) */
s_mov_b32 s52, 128                                 // coordOffset0 d0=4 vc0=0
_v_add_co_u32 v4, vcc, v0, s52                     // coord0.2: coord0 += d0*sg0*VW + vc0
v_cmp_lt_u32 s[52:53], v4, s[sgprSizeI]            // coord0 < size0
v_cmp_lt_u32 s[56:57], v1, s[sgprSizeJ]            // coord1 < size1
s_and_b64 s[56:57], s[52:53], s[56:57]             // in0 && in1
_v_add_lshl_u32 v115, v3, v4, 0x0                  // scaleToBpe: accumulate d0 lower and *= bpe into Cin addr
v_cndmask_b32 v115, -1, v115, s[56:57]             // LDD clip if OOB. offset
/* (d1,vc1,d0,vc0)=(5,1,5,0) */
s_mov_b32 s52, 160                                 // coordOffset0 d0=5 vc0=0
	;; [unrolled: 8-line block ×4, first 2 shown]
_v_add_co_u32 v4, vcc, v0, s52                     // coord0.2: coord0 += d0*sg0*VW + vc0
v_cmp_lt_u32 s[52:53], v4, s[sgprSizeI]            // coord0 < size0
v_cmp_lt_u32 s[56:57], v1, s[sgprSizeJ]            // coord1 < size1
s_and_b64 s[56:57], s[52:53], s[56:57]             // in0 && in1
_v_add_lshl_u32 v124, v3, v4, 0x0                  // scaleToBpe: accumulate d0 lower and *= bpe into Cin addr
v_cndmask_b32 v124, -1, v124, s[56:57]             // LDD clip if OOB. offset
/* (d1,vc1,d0,vc0)=(5,2,0,0) */
_v_add_co_u32 v1, vcc, v1, 1                       // coord1.1: coord1Vgpr += d1*sg1*VW + vc1

/* Fix for UseInitialStridesCD, emitAddressSetupCode */
_v_add_u32 v2, v2, s[sgprStrideC1J]                // ROWINC- Move cinRowPtr to next row
_v_add_u32 v3, v3, s[sgprStrideD1J]                // Move coutRowPtr to next row
v_cmp_lt_u32 s[52:53], v0, s[sgprSizeI]            // coord0 < size0
v_cmp_lt_u32 s[56:57], v1, s[sgprSizeJ]            // coord1 < size1
s_and_b64 s[56:57], s[52:53], s[56:57]             // in0 && in1
_v_add_lshl_u32 v126, v3, v0, 0x0                  // scaleToBpe: accumulate d0 lower and *= bpe into Cin addr
v_cndmask_b32 v126, -1, v126, s[56:57]             // LDD clip if OOB. offset
/* (d1,vc1,d0,vc0)=(5,2,1,0) */
_v_add_co_u32 v4, vcc, v0, 32                      // coord0.1: coord0 += d0*sg0*VW + vc0
v_cmp_lt_u32 s[52:53], v4, s[sgprSizeI]            // coord0 < size0
v_cmp_lt_u32 s[56:57], v1, s[sgprSizeJ]            // coord1 < size1
s_and_b64 s[56:57], s[52:53], s[56:57]             // in0 && in1
_v_add_lshl_u32 v128, v3, v4, 0x0                  // scaleToBpe: accumulate d0 lower and *= bpe into Cin addr
v_cndmask_b32 v128, -1, v128, s[56:57]             // LDD clip if OOB. offset
/* (d1,vc1,d0,vc0)=(5,2,2,0) */
_v_add_co_u32 v4, vcc, v0, 64                      // coord0.1: coord0 += d0*sg0*VW + vc0
v_cmp_lt_u32 s[52:53], v4, s[sgprSizeI]            // coord0 < size0
v_cmp_lt_u32 s[56:57], v1, s[sgprSizeJ]            // coord1 < size1
s_and_b64 s[56:57], s[52:53], s[56:57]             // in0 && in1
_v_add_lshl_u32 v130, v3, v4, 0x0                  // scaleToBpe: accumulate d0 lower and *= bpe into Cin addr
v_cndmask_b32 v130, -1, v130, s[56:57]             // LDD clip if OOB. offset
/* (d1,vc1,d0,vc0)=(5,2,3,0) */
s_mov_b32 s52, 96                                  // coordOffset0 d0=3 vc0=0
_v_add_co_u32 v4, vcc, v0, s52                     // coord0.2: coord0 += d0*sg0*VW + vc0
v_cmp_lt_u32 s[52:53], v4, s[sgprSizeI]            // coord0 < size0
v_cmp_lt_u32 s[56:57], v1, s[sgprSizeJ]            // coord1 < size1
s_and_b64 s[56:57], s[52:53], s[56:57]             // in0 && in1
_v_add_lshl_u32 v132, v3, v4, 0x0                  // scaleToBpe: accumulate d0 lower and *= bpe into Cin addr
v_cndmask_b32 v132, -1, v132, s[56:57]             // LDD clip if OOB. offset
/* (d1,vc1,d0,vc0)=(5,2,4,0) */
s_mov_b32 s52, 128                                 // coordOffset0 d0=4 vc0=0
_v_add_co_u32 v4, vcc, v0, s52                     // coord0.2: coord0 += d0*sg0*VW + vc0
v_cmp_lt_u32 s[52:53], v4, s[sgprSizeI]            // coord0 < size0
v_cmp_lt_u32 s[56:57], v1, s[sgprSizeJ]            // coord1 < size1
s_and_b64 s[56:57], s[52:53], s[56:57]             // in0 && in1
_v_add_lshl_u32 v134, v3, v4, 0x0                  // scaleToBpe: accumulate d0 lower and *= bpe into Cin addr
v_cndmask_b32 v134, -1, v134, s[56:57]             // LDD clip if OOB. offset
/* (d1,vc1,d0,vc0)=(5,2,5,0) */
s_mov_b32 s52, 160                                 // coordOffset0 d0=5 vc0=0
	;; [unrolled: 8-line block ×4, first 2 shown]
_v_add_co_u32 v4, vcc, v0, s52                     // coord0.2: coord0 += d0*sg0*VW + vc0
v_cmp_lt_u32 s[52:53], v4, s[sgprSizeI]            // coord0 < size0
v_cmp_lt_u32 s[56:57], v1, s[sgprSizeJ]            // coord1 < size1
s_and_b64 s[56:57], s[52:53], s[56:57]             // in0 && in1
_v_add_lshl_u32 v140, v3, v4, 0x0                  // scaleToBpe: accumulate d0 lower and *= bpe into Cin addr
v_cndmask_b32 v140, -1, v140, s[56:57]             // LDD clip if OOB. offset
/* (d1,vc1,d0,vc0)=(5,3,0,0) */
_v_add_co_u32 v1, vcc, v1, 1                       // coord1.1: coord1Vgpr += d1*sg1*VW + vc1

/* Fix for UseInitialStridesCD, emitAddressSetupCode */
_v_add_u32 v2, v2, s[sgprStrideC1J]                // ROWINC- Move cinRowPtr to next row
_v_add_u32 v3, v3, s[sgprStrideD1J]                // Move coutRowPtr to next row
v_cmp_lt_u32 s[52:53], v0, s[sgprSizeI]            // coord0 < size0
v_cmp_lt_u32 s[56:57], v1, s[sgprSizeJ]            // coord1 < size1
s_and_b64 s[56:57], s[52:53], s[56:57]             // in0 && in1
_v_add_lshl_u32 v142, v3, v0, 0x0                  // scaleToBpe: accumulate d0 lower and *= bpe into Cin addr
v_cndmask_b32 v142, -1, v142, s[56:57]             // LDD clip if OOB. offset
/* (d1,vc1,d0,vc0)=(5,3,1,0) */
_v_add_co_u32 v4, vcc, v0, 32                      // coord0.1: coord0 += d0*sg0*VW + vc0
v_cmp_lt_u32 s[52:53], v4, s[sgprSizeI]            // coord0 < size0
v_cmp_lt_u32 s[56:57], v1, s[sgprSizeJ]            // coord1 < size1
s_and_b64 s[56:57], s[52:53], s[56:57]             // in0 && in1
_v_add_lshl_u32 v144, v3, v4, 0x0                  // scaleToBpe: accumulate d0 lower and *= bpe into Cin addr
v_cndmask_b32 v144, -1, v144, s[56:57]             // LDD clip if OOB. offset
/* (d1,vc1,d0,vc0)=(5,3,2,0) */
_v_add_co_u32 v4, vcc, v0, 64                      // coord0.1: coord0 += d0*sg0*VW + vc0
v_cmp_lt_u32 s[52:53], v4, s[sgprSizeI]            // coord0 < size0
v_cmp_lt_u32 s[56:57], v1, s[sgprSizeJ]            // coord1 < size1
s_and_b64 s[56:57], s[52:53], s[56:57]             // in0 && in1
_v_add_lshl_u32 v146, v3, v4, 0x0                  // scaleToBpe: accumulate d0 lower and *= bpe into Cin addr
v_cndmask_b32 v146, -1, v146, s[56:57]             // LDD clip if OOB. offset
/* (d1,vc1,d0,vc0)=(5,3,3,0) */
s_mov_b32 s52, 96                                  // coordOffset0 d0=3 vc0=0
_v_add_co_u32 v4, vcc, v0, s52                     // coord0.2: coord0 += d0*sg0*VW + vc0
v_cmp_lt_u32 s[52:53], v4, s[sgprSizeI]            // coord0 < size0
v_cmp_lt_u32 s[56:57], v1, s[sgprSizeJ]            // coord1 < size1
s_and_b64 s[56:57], s[52:53], s[56:57]             // in0 && in1
_v_add_lshl_u32 v148, v3, v4, 0x0                  // scaleToBpe: accumulate d0 lower and *= bpe into Cin addr
v_cndmask_b32 v148, -1, v148, s[56:57]             // LDD clip if OOB. offset
/* (d1,vc1,d0,vc0)=(5,3,4,0) */
s_mov_b32 s52, 128                                 // coordOffset0 d0=4 vc0=0
_v_add_co_u32 v4, vcc, v0, s52                     // coord0.2: coord0 += d0*sg0*VW + vc0
v_cmp_lt_u32 s[52:53], v4, s[sgprSizeI]            // coord0 < size0
v_cmp_lt_u32 s[56:57], v1, s[sgprSizeJ]            // coord1 < size1
s_and_b64 s[56:57], s[52:53], s[56:57]             // in0 && in1
_v_add_lshl_u32 v150, v3, v4, 0x0                  // scaleToBpe: accumulate d0 lower and *= bpe into Cin addr
v_cndmask_b32 v150, -1, v150, s[56:57]             // LDD clip if OOB. offset
/* (d1,vc1,d0,vc0)=(5,3,5,0) */
s_mov_b32 s52, 160                                 // coordOffset0 d0=5 vc0=0
	;; [unrolled: 8-line block ×4, first 2 shown]
_v_add_co_u32 v4, vcc, v0, s52                     // coord0.2: coord0 += d0*sg0*VW + vc0
v_cmp_lt_u32 s[52:53], v4, s[sgprSizeI]            // coord0 < size0
v_cmp_lt_u32 s[56:57], v1, s[sgprSizeJ]            // coord1 < size1
s_and_b64 s[56:57], s[52:53], s[56:57]             // in0 && in1
_v_add_lshl_u32 v156, v3, v4, 0x0                  // scaleToBpe: accumulate d0 lower and *= bpe into Cin addr
v_cndmask_b32 v156, -1, v156, s[56:57]             // LDD clip if OOB. offset
/* (d1,vc1,d0,vc0)=(6,0,0,0) */
_v_add_co_u32 v1, vcc, v1, 5                       // coord1.1: coord1Vgpr += d1*sg1*VW + vc1

/* Fix for UseInitialStridesCD, emitAddressSetupCode */
s_mul_i32 s52, s[sgprStrideC1J], 5                 // scale stride
_v_add_u32 v2, v2, s52                             // ROWINC- Move cinRowPtr to next row
s_mul_i32 s52, s[sgprStrideD1J], 5                 // scale stride
_v_add_u32 v3, v3, s52                             // Move coutRowPtr to next row
v_cmp_lt_u32 s[52:53], v0, s[sgprSizeI]            // coord0 < size0
v_cmp_lt_u32 s[56:57], v1, s[sgprSizeJ]            // coord1 < size1
s_and_b64 s[56:57], s[52:53], s[56:57]             // in0 && in1
_v_add_lshl_u32 v158, v3, v0, 0x0                  // scaleToBpe: accumulate d0 lower and *= bpe into Cin addr
v_cndmask_b32 v158, -1, v158, s[56:57]             // LDD clip if OOB. offset
/* (d1,vc1,d0,vc0)=(6,0,1,0) */
_v_add_co_u32 v4, vcc, v0, 32                      // coord0.1: coord0 += d0*sg0*VW + vc0
v_cmp_lt_u32 s[52:53], v4, s[sgprSizeI]            // coord0 < size0
v_cmp_lt_u32 s[56:57], v1, s[sgprSizeJ]            // coord1 < size1
s_and_b64 s[56:57], s[52:53], s[56:57]             // in0 && in1
_v_add_lshl_u32 v160, v3, v4, 0x0                  // scaleToBpe: accumulate d0 lower and *= bpe into Cin addr
v_cndmask_b32 v160, -1, v160, s[56:57]             // LDD clip if OOB. offset
/* (d1,vc1,d0,vc0)=(6,0,2,0) */
_v_add_co_u32 v4, vcc, v0, 64                      // coord0.1: coord0 += d0*sg0*VW + vc0
v_cmp_lt_u32 s[52:53], v4, s[sgprSizeI]            // coord0 < size0
v_cmp_lt_u32 s[56:57], v1, s[sgprSizeJ]            // coord1 < size1
s_and_b64 s[56:57], s[52:53], s[56:57]             // in0 && in1
_v_add_lshl_u32 v162, v3, v4, 0x0                  // scaleToBpe: accumulate d0 lower and *= bpe into Cin addr
v_cndmask_b32 v162, -1, v162, s[56:57]             // LDD clip if OOB. offset
/* (d1,vc1,d0,vc0)=(6,0,3,0) */
s_mov_b32 s52, 96                                  // coordOffset0 d0=3 vc0=0
_v_add_co_u32 v4, vcc, v0, s52                     // coord0.2: coord0 += d0*sg0*VW + vc0
v_cmp_lt_u32 s[52:53], v4, s[sgprSizeI]            // coord0 < size0
v_cmp_lt_u32 s[56:57], v1, s[sgprSizeJ]            // coord1 < size1
s_and_b64 s[56:57], s[52:53], s[56:57]             // in0 && in1
_v_add_lshl_u32 v164, v3, v4, 0x0                  // scaleToBpe: accumulate d0 lower and *= bpe into Cin addr
v_cndmask_b32 v164, -1, v164, s[56:57]             // LDD clip if OOB. offset
/* (d1,vc1,d0,vc0)=(6,0,4,0) */
s_mov_b32 s52, 128                                 // coordOffset0 d0=4 vc0=0
_v_add_co_u32 v4, vcc, v0, s52                     // coord0.2: coord0 += d0*sg0*VW + vc0
v_cmp_lt_u32 s[52:53], v4, s[sgprSizeI]            // coord0 < size0
v_cmp_lt_u32 s[56:57], v1, s[sgprSizeJ]            // coord1 < size1
s_and_b64 s[56:57], s[52:53], s[56:57]             // in0 && in1
_v_add_lshl_u32 v166, v3, v4, 0x0                  // scaleToBpe: accumulate d0 lower and *= bpe into Cin addr
v_cndmask_b32 v166, -1, v166, s[56:57]             // LDD clip if OOB. offset
/* (d1,vc1,d0,vc0)=(6,0,5,0) */
s_mov_b32 s52, 160                                 // coordOffset0 d0=5 vc0=0
	;; [unrolled: 8-line block ×4, first 2 shown]
_v_add_co_u32 v4, vcc, v0, s52                     // coord0.2: coord0 += d0*sg0*VW + vc0
v_cmp_lt_u32 s[52:53], v4, s[sgprSizeI]            // coord0 < size0
v_cmp_lt_u32 s[56:57], v1, s[sgprSizeJ]            // coord1 < size1
s_and_b64 s[56:57], s[52:53], s[56:57]             // in0 && in1
_v_add_lshl_u32 v172, v3, v4, 0x0                  // scaleToBpe: accumulate d0 lower and *= bpe into Cin addr
v_cndmask_b32 v172, -1, v172, s[56:57]             // LDD clip if OOB. offset
/* (d1,vc1,d0,vc0)=(6,1,0,0) */
_v_add_co_u32 v1, vcc, v1, 1                       // coord1.1: coord1Vgpr += d1*sg1*VW + vc1

/* Fix for UseInitialStridesCD, emitAddressSetupCode */
_v_add_u32 v2, v2, s[sgprStrideC1J]                // ROWINC- Move cinRowPtr to next row
_v_add_u32 v3, v3, s[sgprStrideD1J]                // Move coutRowPtr to next row
v_cmp_lt_u32 s[52:53], v0, s[sgprSizeI]            // coord0 < size0
v_cmp_lt_u32 s[56:57], v1, s[sgprSizeJ]            // coord1 < size1
s_and_b64 s[56:57], s[52:53], s[56:57]             // in0 && in1
_v_add_lshl_u32 v174, v3, v0, 0x0                  // scaleToBpe: accumulate d0 lower and *= bpe into Cin addr
v_cndmask_b32 v174, -1, v174, s[56:57]             // LDD clip if OOB. offset
/* (d1,vc1,d0,vc0)=(6,1,1,0) */
_v_add_co_u32 v4, vcc, v0, 32                      // coord0.1: coord0 += d0*sg0*VW + vc0
v_cmp_lt_u32 s[52:53], v4, s[sgprSizeI]            // coord0 < size0
v_cmp_lt_u32 s[56:57], v1, s[sgprSizeJ]            // coord1 < size1
s_and_b64 s[56:57], s[52:53], s[56:57]             // in0 && in1
_v_add_lshl_u32 v176, v3, v4, 0x0                  // scaleToBpe: accumulate d0 lower and *= bpe into Cin addr
v_cndmask_b32 v176, -1, v176, s[56:57]             // LDD clip if OOB. offset
/* (d1,vc1,d0,vc0)=(6,1,2,0) */
_v_add_co_u32 v4, vcc, v0, 64                      // coord0.1: coord0 += d0*sg0*VW + vc0
v_cmp_lt_u32 s[52:53], v4, s[sgprSizeI]            // coord0 < size0
v_cmp_lt_u32 s[56:57], v1, s[sgprSizeJ]            // coord1 < size1
s_and_b64 s[56:57], s[52:53], s[56:57]             // in0 && in1
_v_add_lshl_u32 v178, v3, v4, 0x0                  // scaleToBpe: accumulate d0 lower and *= bpe into Cin addr
v_cndmask_b32 v178, -1, v178, s[56:57]             // LDD clip if OOB. offset
/* (d1,vc1,d0,vc0)=(6,1,3,0) */
s_mov_b32 s52, 96                                  // coordOffset0 d0=3 vc0=0
_v_add_co_u32 v4, vcc, v0, s52                     // coord0.2: coord0 += d0*sg0*VW + vc0
v_cmp_lt_u32 s[52:53], v4, s[sgprSizeI]            // coord0 < size0
v_cmp_lt_u32 s[56:57], v1, s[sgprSizeJ]            // coord1 < size1
s_and_b64 s[56:57], s[52:53], s[56:57]             // in0 && in1
_v_add_lshl_u32 v180, v3, v4, 0x0                  // scaleToBpe: accumulate d0 lower and *= bpe into Cin addr
v_cndmask_b32 v180, -1, v180, s[56:57]             // LDD clip if OOB. offset
/* (d1,vc1,d0,vc0)=(6,1,4,0) */
s_mov_b32 s52, 128                                 // coordOffset0 d0=4 vc0=0
_v_add_co_u32 v4, vcc, v0, s52                     // coord0.2: coord0 += d0*sg0*VW + vc0
v_cmp_lt_u32 s[52:53], v4, s[sgprSizeI]            // coord0 < size0
v_cmp_lt_u32 s[56:57], v1, s[sgprSizeJ]            // coord1 < size1
s_and_b64 s[56:57], s[52:53], s[56:57]             // in0 && in1
_v_add_lshl_u32 v182, v3, v4, 0x0                  // scaleToBpe: accumulate d0 lower and *= bpe into Cin addr
v_cndmask_b32 v182, -1, v182, s[56:57]             // LDD clip if OOB. offset
/* (d1,vc1,d0,vc0)=(6,1,5,0) */
s_mov_b32 s52, 160                                 // coordOffset0 d0=5 vc0=0
_v_add_co_u32 v4, vcc, v0, s52                     // coord0.2: coord0 += d0*sg0*VW + vc0
v_cmp_lt_u32 s[52:53], v4, s[sgprSizeI]            // coord0 < size0
v_cmp_lt_u32 s[56:57], v1, s[sgprSizeJ]            // coord1 < size1
s_and_b64 s[56:57], s[52:53], s[56:57]             // in0 && in1
_v_add_lshl_u32 v184, v3, v4, 0x0                  // scaleToBpe: accumulate d0 lower and *= bpe into Cin addr
v_cndmask_b32 v184, -1, v184, s[56:57]             // LDD clip if OOB. offset
/* (d1,vc1,d0,vc0)=(6,1,6,0) */
s_mov_b32 s52, 192                                 // coordOffset0 d0=6 vc0=0
_v_add_co_u32 v4, vcc, v0, s52                     // coord0.2: coord0 += d0*sg0*VW + vc0
v_cmp_lt_u32 s[52:53], v4, s[sgprSizeI]            // coord0 < size0
v_cmp_lt_u32 s[56:57], v1, s[sgprSizeJ]            // coord1 < size1
s_and_b64 s[56:57], s[52:53], s[56:57]             // in0 && in1
_v_add_lshl_u32 v186, v3, v4, 0x0                  // scaleToBpe: accumulate d0 lower and *= bpe into Cin addr
v_cndmask_b32 v186, -1, v186, s[56:57]             // LDD clip if OOB. offset
/* (d1,vc1,d0,vc0)=(6,1,7,0) */
s_mov_b32 s52, 224                                 // coordOffset0 d0=7 vc0=0
_v_add_co_u32 v4, vcc, v0, s52                     // coord0.2: coord0 += d0*sg0*VW + vc0
v_cmp_lt_u32 s[52:53], v4, s[sgprSizeI]            // coord0 < size0
v_cmp_lt_u32 s[56:57], v1, s[sgprSizeJ]            // coord1 < size1
s_and_b64 s[56:57], s[52:53], s[56:57]             // in0 && in1
_v_add_lshl_u32 v188, v3, v4, 0x0                  // scaleToBpe: accumulate d0 lower and *= bpe into Cin addr
v_cndmask_b32 v188, -1, v188, s[56:57]             // LDD clip if OOB. offset
/* (d1,vc1,d0,vc0)=(6,2,0,0) */
_v_add_co_u32 v1, vcc, v1, 1                       // coord1.1: coord1Vgpr += d1*sg1*VW + vc1

/* Fix for UseInitialStridesCD, emitAddressSetupCode */
_v_add_u32 v2, v2, s[sgprStrideC1J]                // ROWINC- Move cinRowPtr to next row
_v_add_u32 v3, v3, s[sgprStrideD1J]                // Move coutRowPtr to next row
v_cmp_lt_u32 s[52:53], v0, s[sgprSizeI]            // coord0 < size0
v_cmp_lt_u32 s[56:57], v1, s[sgprSizeJ]            // coord1 < size1
s_and_b64 s[56:57], s[52:53], s[56:57]             // in0 && in1
_v_add_lshl_u32 v190, v3, v0, 0x0                  // scaleToBpe: accumulate d0 lower and *= bpe into Cin addr
v_cndmask_b32 v190, -1, v190, s[56:57]             // LDD clip if OOB. offset
/* (d1,vc1,d0,vc0)=(6,2,1,0) */
_v_add_co_u32 v4, vcc, v0, 32                      // coord0.1: coord0 += d0*sg0*VW + vc0
v_cmp_lt_u32 s[52:53], v4, s[sgprSizeI]            // coord0 < size0
v_cmp_lt_u32 s[56:57], v1, s[sgprSizeJ]            // coord1 < size1
s_and_b64 s[56:57], s[52:53], s[56:57]             // in0 && in1
_v_add_lshl_u32 v192, v3, v4, 0x0                  // scaleToBpe: accumulate d0 lower and *= bpe into Cin addr
v_cndmask_b32 v192, -1, v192, s[56:57]             // LDD clip if OOB. offset
/* (d1,vc1,d0,vc0)=(6,2,2,0) */
_v_add_co_u32 v4, vcc, v0, 64                      // coord0.1: coord0 += d0*sg0*VW + vc0
v_cmp_lt_u32 s[52:53], v4, s[sgprSizeI]            // coord0 < size0
v_cmp_lt_u32 s[56:57], v1, s[sgprSizeJ]            // coord1 < size1
s_and_b64 s[56:57], s[52:53], s[56:57]             // in0 && in1
_v_add_lshl_u32 v194, v3, v4, 0x0                  // scaleToBpe: accumulate d0 lower and *= bpe into Cin addr
v_cndmask_b32 v194, -1, v194, s[56:57]             // LDD clip if OOB. offset
/* (d1,vc1,d0,vc0)=(6,2,3,0) */
s_mov_b32 s52, 96                                  // coordOffset0 d0=3 vc0=0
_v_add_co_u32 v4, vcc, v0, s52                     // coord0.2: coord0 += d0*sg0*VW + vc0
v_cmp_lt_u32 s[52:53], v4, s[sgprSizeI]            // coord0 < size0
v_cmp_lt_u32 s[56:57], v1, s[sgprSizeJ]            // coord1 < size1
s_and_b64 s[56:57], s[52:53], s[56:57]             // in0 && in1
_v_add_lshl_u32 v196, v3, v4, 0x0                  // scaleToBpe: accumulate d0 lower and *= bpe into Cin addr
v_cndmask_b32 v196, -1, v196, s[56:57]             // LDD clip if OOB. offset
/* (d1,vc1,d0,vc0)=(6,2,4,0) */
s_mov_b32 s52, 128                                 // coordOffset0 d0=4 vc0=0
_v_add_co_u32 v4, vcc, v0, s52                     // coord0.2: coord0 += d0*sg0*VW + vc0
v_cmp_lt_u32 s[52:53], v4, s[sgprSizeI]            // coord0 < size0
v_cmp_lt_u32 s[56:57], v1, s[sgprSizeJ]            // coord1 < size1
s_and_b64 s[56:57], s[52:53], s[56:57]             // in0 && in1
_v_add_lshl_u32 v198, v3, v4, 0x0                  // scaleToBpe: accumulate d0 lower and *= bpe into Cin addr
v_cndmask_b32 v198, -1, v198, s[56:57]             // LDD clip if OOB. offset
/* (d1,vc1,d0,vc0)=(6,2,5,0) */
s_mov_b32 s52, 160                                 // coordOffset0 d0=5 vc0=0
	;; [unrolled: 8-line block ×4, first 2 shown]
_v_add_co_u32 v4, vcc, v0, s52                     // coord0.2: coord0 += d0*sg0*VW + vc0
v_cmp_lt_u32 s[52:53], v4, s[sgprSizeI]            // coord0 < size0
v_cmp_lt_u32 s[56:57], v1, s[sgprSizeJ]            // coord1 < size1
s_and_b64 s[56:57], s[52:53], s[56:57]             // in0 && in1
_v_add_lshl_u32 v204, v3, v4, 0x0                  // scaleToBpe: accumulate d0 lower and *= bpe into Cin addr
v_cndmask_b32 v204, -1, v204, s[56:57]             // LDD clip if OOB. offset
/* (d1,vc1,d0,vc0)=(6,3,0,0) */
_v_add_co_u32 v1, vcc, v1, 1                       // coord1.1: coord1Vgpr += d1*sg1*VW + vc1

/* Fix for UseInitialStridesCD, emitAddressSetupCode */
_v_add_u32 v2, v2, s[sgprStrideC1J]                // ROWINC- Move cinRowPtr to next row
_v_add_u32 v3, v3, s[sgprStrideD1J]                // Move coutRowPtr to next row
v_cmp_lt_u32 s[52:53], v0, s[sgprSizeI]            // coord0 < size0
v_cmp_lt_u32 s[56:57], v1, s[sgprSizeJ]            // coord1 < size1
s_and_b64 s[56:57], s[52:53], s[56:57]             // in0 && in1
_v_add_lshl_u32 v206, v3, v0, 0x0                  // scaleToBpe: accumulate d0 lower and *= bpe into Cin addr
v_cndmask_b32 v206, -1, v206, s[56:57]             // LDD clip if OOB. offset
/* (d1,vc1,d0,vc0)=(6,3,1,0) */
_v_add_co_u32 v4, vcc, v0, 32                      // coord0.1: coord0 += d0*sg0*VW + vc0
v_cmp_lt_u32 s[52:53], v4, s[sgprSizeI]            // coord0 < size0
v_cmp_lt_u32 s[56:57], v1, s[sgprSizeJ]            // coord1 < size1
s_and_b64 s[56:57], s[52:53], s[56:57]             // in0 && in1
_v_add_lshl_u32 v208, v3, v4, 0x0                  // scaleToBpe: accumulate d0 lower and *= bpe into Cin addr
v_cndmask_b32 v208, -1, v208, s[56:57]             // LDD clip if OOB. offset
/* (d1,vc1,d0,vc0)=(6,3,2,0) */
_v_add_co_u32 v4, vcc, v0, 64                      // coord0.1: coord0 += d0*sg0*VW + vc0
v_cmp_lt_u32 s[52:53], v4, s[sgprSizeI]            // coord0 < size0
v_cmp_lt_u32 s[56:57], v1, s[sgprSizeJ]            // coord1 < size1
s_and_b64 s[56:57], s[52:53], s[56:57]             // in0 && in1
_v_add_lshl_u32 v210, v3, v4, 0x0                  // scaleToBpe: accumulate d0 lower and *= bpe into Cin addr
v_cndmask_b32 v210, -1, v210, s[56:57]             // LDD clip if OOB. offset
/* (d1,vc1,d0,vc0)=(6,3,3,0) */
s_mov_b32 s52, 96                                  // coordOffset0 d0=3 vc0=0
_v_add_co_u32 v4, vcc, v0, s52                     // coord0.2: coord0 += d0*sg0*VW + vc0
v_cmp_lt_u32 s[52:53], v4, s[sgprSizeI]            // coord0 < size0
v_cmp_lt_u32 s[56:57], v1, s[sgprSizeJ]            // coord1 < size1
s_and_b64 s[56:57], s[52:53], s[56:57]             // in0 && in1
_v_add_lshl_u32 v212, v3, v4, 0x0                  // scaleToBpe: accumulate d0 lower and *= bpe into Cin addr
v_cndmask_b32 v212, -1, v212, s[56:57]             // LDD clip if OOB. offset
/* (d1,vc1,d0,vc0)=(6,3,4,0) */
s_mov_b32 s52, 128                                 // coordOffset0 d0=4 vc0=0
_v_add_co_u32 v4, vcc, v0, s52                     // coord0.2: coord0 += d0*sg0*VW + vc0
v_cmp_lt_u32 s[52:53], v4, s[sgprSizeI]            // coord0 < size0
v_cmp_lt_u32 s[56:57], v1, s[sgprSizeJ]            // coord1 < size1
s_and_b64 s[56:57], s[52:53], s[56:57]             // in0 && in1
_v_add_lshl_u32 v214, v3, v4, 0x0                  // scaleToBpe: accumulate d0 lower and *= bpe into Cin addr
v_cndmask_b32 v214, -1, v214, s[56:57]             // LDD clip if OOB. offset
/* (d1,vc1,d0,vc0)=(6,3,5,0) */
s_mov_b32 s52, 160                                 // coordOffset0 d0=5 vc0=0
_v_add_co_u32 v4, vcc, v0, s52                     // coord0.2: coord0 += d0*sg0*VW + vc0
v_cmp_lt_u32 s[52:53], v4, s[sgprSizeI]            // coord0 < size0
v_cmp_lt_u32 s[56:57], v1, s[sgprSizeJ]            // coord1 < size1
s_and_b64 s[56:57], s[52:53], s[56:57]             // in0 && in1
_v_add_lshl_u32 v216, v3, v4, 0x0                  // scaleToBpe: accumulate d0 lower and *= bpe into Cin addr
v_cndmask_b32 v216, -1, v216, s[56:57]             // LDD clip if OOB. offset
/* (d1,vc1,d0,vc0)=(6,3,6,0) */
s_mov_b32 s52, 192                                 // coordOffset0 d0=6 vc0=0
_v_add_co_u32 v4, vcc, v0, s52                     // coord0.2: coord0 += d0*sg0*VW + vc0
v_cmp_lt_u32 s[52:53], v4, s[sgprSizeI]            // coord0 < size0
v_cmp_lt_u32 s[56:57], v1, s[sgprSizeJ]            // coord1 < size1
s_and_b64 s[56:57], s[52:53], s[56:57]             // in0 && in1
_v_add_lshl_u32 v218, v3, v4, 0x0                  // scaleToBpe: accumulate d0 lower and *= bpe into Cin addr
v_cndmask_b32 v218, -1, v218, s[56:57]             // LDD clip if OOB. offset
/* (d1,vc1,d0,vc0)=(6,3,7,0) */
s_mov_b32 s52, 224                                 // coordOffset0 d0=7 vc0=0
_v_add_co_u32 v4, vcc, v0, s52                     // coord0.2: coord0 += d0*sg0*VW + vc0
v_cmp_lt_u32 s[52:53], v4, s[sgprSizeI]            // coord0 < size0
v_cmp_lt_u32 s[56:57], v1, s[sgprSizeJ]            // coord1 < size1
s_and_b64 s[56:57], s[52:53], s[56:57]             // in0 && in1
_v_add_lshl_u32 v220, v3, v4, 0x0                  // scaleToBpe: accumulate d0 lower and *= bpe into Cin addr
v_cndmask_b32 v220, -1, v220, s[56:57]             // LDD clip if OOB. offset
/* (d1,vc1,d0,vc0)=(7,0,0,0) */
_v_add_co_u32 v1, vcc, v1, 5                       // coord1.1: coord1Vgpr += d1*sg1*VW + vc1

/* Fix for UseInitialStridesCD, emitAddressSetupCode */
s_mul_i32 s52, s[sgprStrideC1J], 5                 // scale stride
_v_add_u32 v2, v2, s52                             // ROWINC- Move cinRowPtr to next row
s_mul_i32 s52, s[sgprStrideD1J], 5                 // scale stride
_v_add_u32 v3, v3, s52                             // Move coutRowPtr to next row
v_cmp_lt_u32 s[52:53], v0, s[sgprSizeI]            // coord0 < size0
v_cmp_lt_u32 s[56:57], v1, s[sgprSizeJ]            // coord1 < size1
s_and_b64 s[56:57], s[52:53], s[56:57]             // in0 && in1
_v_add_lshl_u32 v222, v3, v0, 0x0                  // scaleToBpe: accumulate d0 lower and *= bpe into Cin addr
v_cndmask_b32 v222, -1, v222, s[56:57]             // LDD clip if OOB. offset
/* (d1,vc1,d0,vc0)=(7,0,1,0) */
_v_add_co_u32 v4, vcc, v0, 32                      // coord0.1: coord0 += d0*sg0*VW + vc0
v_cmp_lt_u32 s[52:53], v4, s[sgprSizeI]            // coord0 < size0
v_cmp_lt_u32 s[56:57], v1, s[sgprSizeJ]            // coord1 < size1
s_and_b64 s[56:57], s[52:53], s[56:57]             // in0 && in1
_v_add_lshl_u32 v224, v3, v4, 0x0                  // scaleToBpe: accumulate d0 lower and *= bpe into Cin addr
v_cndmask_b32 v224, -1, v224, s[56:57]             // LDD clip if OOB. offset
/* (d1,vc1,d0,vc0)=(7,0,2,0) */
_v_add_co_u32 v4, vcc, v0, 64                      // coord0.1: coord0 += d0*sg0*VW + vc0
v_cmp_lt_u32 s[52:53], v4, s[sgprSizeI]            // coord0 < size0
v_cmp_lt_u32 s[56:57], v1, s[sgprSizeJ]            // coord1 < size1
s_and_b64 s[56:57], s[52:53], s[56:57]             // in0 && in1
_v_add_lshl_u32 v226, v3, v4, 0x0                  // scaleToBpe: accumulate d0 lower and *= bpe into Cin addr
v_cndmask_b32 v226, -1, v226, s[56:57]             // LDD clip if OOB. offset
/* (d1,vc1,d0,vc0)=(7,0,3,0) */
s_mov_b32 s52, 96                                  // coordOffset0 d0=3 vc0=0
_v_add_co_u32 v4, vcc, v0, s52                     // coord0.2: coord0 += d0*sg0*VW + vc0
v_cmp_lt_u32 s[52:53], v4, s[sgprSizeI]            // coord0 < size0
v_cmp_lt_u32 s[56:57], v1, s[sgprSizeJ]            // coord1 < size1
s_and_b64 s[56:57], s[52:53], s[56:57]             // in0 && in1
_v_add_lshl_u32 v228, v3, v4, 0x0                  // scaleToBpe: accumulate d0 lower and *= bpe into Cin addr
v_cndmask_b32 v228, -1, v228, s[56:57]             // LDD clip if OOB. offset
/* (d1,vc1,d0,vc0)=(7,0,4,0) */
s_mov_b32 s52, 128                                 // coordOffset0 d0=4 vc0=0
_v_add_co_u32 v4, vcc, v0, s52                     // coord0.2: coord0 += d0*sg0*VW + vc0
v_cmp_lt_u32 s[52:53], v4, s[sgprSizeI]            // coord0 < size0
v_cmp_lt_u32 s[56:57], v1, s[sgprSizeJ]            // coord1 < size1
s_and_b64 s[56:57], s[52:53], s[56:57]             // in0 && in1
_v_add_lshl_u32 v230, v3, v4, 0x0                  // scaleToBpe: accumulate d0 lower and *= bpe into Cin addr
v_cndmask_b32 v230, -1, v230, s[56:57]             // LDD clip if OOB. offset
/* (d1,vc1,d0,vc0)=(7,0,5,0) */
s_mov_b32 s52, 160                                 // coordOffset0 d0=5 vc0=0
_v_add_co_u32 v4, vcc, v0, s52                     // coord0.2: coord0 += d0*sg0*VW + vc0
v_cmp_lt_u32 s[52:53], v4, s[sgprSizeI]            // coord0 < size0
v_cmp_lt_u32 s[56:57], v1, s[sgprSizeJ]            // coord1 < size1
s_and_b64 s[56:57], s[52:53], s[56:57]             // in0 && in1
_v_add_lshl_u32 v232, v3, v4, 0x0                  // scaleToBpe: accumulate d0 lower and *= bpe into Cin addr
v_cndmask_b32 v232, -1, v232, s[56:57]             // LDD clip if OOB. offset
/* (d1,vc1,d0,vc0)=(7,0,6,0) */
s_mov_b32 s52, 192                                 // coordOffset0 d0=6 vc0=0
_v_add_co_u32 v4, vcc, v0, s52                     // coord0.2: coord0 += d0*sg0*VW + vc0
v_cmp_lt_u32 s[52:53], v4, s[sgprSizeI]            // coord0 < size0
v_cmp_lt_u32 s[56:57], v1, s[sgprSizeJ]            // coord1 < size1
s_and_b64 s[56:57], s[52:53], s[56:57]             // in0 && in1
_v_add_lshl_u32 v234, v3, v4, 0x0                  // scaleToBpe: accumulate d0 lower and *= bpe into Cin addr
v_cndmask_b32 v234, -1, v234, s[56:57]             // LDD clip if OOB. offset
/* (d1,vc1,d0,vc0)=(7,0,7,0) */
s_mov_b32 s52, 224                                 // coordOffset0 d0=7 vc0=0
_v_add_co_u32 v4, vcc, v0, s52                     // coord0.2: coord0 += d0*sg0*VW + vc0
v_cmp_lt_u32 s[52:53], v4, s[sgprSizeI]            // coord0 < size0
v_cmp_lt_u32 s[56:57], v1, s[sgprSizeJ]            // coord1 < size1
s_and_b64 s[56:57], s[52:53], s[56:57]             // in0 && in1
_v_add_lshl_u32 v236, v3, v4, 0x0                  // scaleToBpe: accumulate d0 lower and *= bpe into Cin addr
v_cndmask_b32 v236, -1, v236, s[56:57]             // LDD clip if OOB. offset
/* (d1,vc1,d0,vc0)=(7,1,0,0) */
_v_add_co_u32 v1, vcc, v1, 1                       // coord1.1: coord1Vgpr += d1*sg1*VW + vc1

/* Fix for UseInitialStridesCD, emitAddressSetupCode */
_v_add_u32 v2, v2, s[sgprStrideC1J]                // ROWINC- Move cinRowPtr to next row
_v_add_u32 v3, v3, s[sgprStrideD1J]                // Move coutRowPtr to next row
v_cmp_lt_u32 s[52:53], v0, s[sgprSizeI]            // coord0 < size0
v_cmp_lt_u32 s[56:57], v1, s[sgprSizeJ]            // coord1 < size1
s_and_b64 s[56:57], s[52:53], s[56:57]             // in0 && in1
_v_add_lshl_u32 v238, v3, v0, 0x0                  // scaleToBpe: accumulate d0 lower and *= bpe into Cin addr
v_cndmask_b32 v238, -1, v238, s[56:57]             // LDD clip if OOB. offset
/* (d1,vc1,d0,vc0)=(7,1,1,0) */
_v_add_co_u32 v4, vcc, v0, 32                      // coord0.1: coord0 += d0*sg0*VW + vc0
v_cmp_lt_u32 s[52:53], v4, s[sgprSizeI]            // coord0 < size0
v_cmp_lt_u32 s[56:57], v1, s[sgprSizeJ]            // coord1 < size1
s_and_b64 s[56:57], s[52:53], s[56:57]             // in0 && in1
_v_add_lshl_u32 v240, v3, v4, 0x0                  // scaleToBpe: accumulate d0 lower and *= bpe into Cin addr
v_cndmask_b32 v240, -1, v240, s[56:57]             // LDD clip if OOB. offset
/* (d1,vc1,d0,vc0)=(7,1,2,0) */
_v_add_co_u32 v4, vcc, v0, 64                      // coord0.1: coord0 += d0*sg0*VW + vc0
v_cmp_lt_u32 s[52:53], v4, s[sgprSizeI]            // coord0 < size0
v_cmp_lt_u32 s[56:57], v1, s[sgprSizeJ]            // coord1 < size1
s_and_b64 s[56:57], s[52:53], s[56:57]             // in0 && in1
_v_add_lshl_u32 v242, v3, v4, 0x0                  // scaleToBpe: accumulate d0 lower and *= bpe into Cin addr
v_cndmask_b32 v242, -1, v242, s[56:57]             // LDD clip if OOB. offset
/* (d1,vc1,d0,vc0)=(7,1,3,0) */
s_mov_b32 s52, 96                                  // coordOffset0 d0=3 vc0=0
_v_add_co_u32 v4, vcc, v0, s52                     // coord0.2: coord0 += d0*sg0*VW + vc0
v_cmp_lt_u32 s[52:53], v4, s[sgprSizeI]            // coord0 < size0
v_cmp_lt_u32 s[56:57], v1, s[sgprSizeJ]            // coord1 < size1
s_and_b64 s[56:57], s[52:53], s[56:57]             // in0 && in1
_v_add_lshl_u32 v244, v3, v4, 0x0                  // scaleToBpe: accumulate d0 lower and *= bpe into Cin addr
v_cndmask_b32 v244, -1, v244, s[56:57]             // LDD clip if OOB. offset
/* (d1,vc1,d0,vc0)=(7,1,4,0) */
s_mov_b32 s52, 128                                 // coordOffset0 d0=4 vc0=0
_v_add_co_u32 v4, vcc, v0, s52                     // coord0.2: coord0 += d0*sg0*VW + vc0
v_cmp_lt_u32 s[52:53], v4, s[sgprSizeI]            // coord0 < size0
v_cmp_lt_u32 s[56:57], v1, s[sgprSizeJ]            // coord1 < size1
s_and_b64 s[56:57], s[52:53], s[56:57]             // in0 && in1
_v_add_lshl_u32 v246, v3, v4, 0x0                  // scaleToBpe: accumulate d0 lower and *= bpe into Cin addr
v_cndmask_b32 v246, -1, v246, s[56:57]             // LDD clip if OOB. offset
/* (d1,vc1,d0,vc0)=(7,1,5,0) */
s_mov_b32 s52, 160                                 // coordOffset0 d0=5 vc0=0
	;; [unrolled: 8-line block ×4, first 2 shown]
_v_add_co_u32 v4, vcc, v0, s52                     // coord0.2: coord0 += d0*sg0*VW + vc0
v_cmp_lt_u32 s[52:53], v4, s[sgprSizeI]            // coord0 < size0
v_cmp_lt_u32 s[56:57], v1, s[sgprSizeJ]            // coord1 < size1
s_and_b64 s[56:57], s[52:53], s[56:57]             // in0 && in1
_v_add_lshl_u32 v252, v3, v4, 0x0                  // scaleToBpe: accumulate d0 lower and *= bpe into Cin addr
v_cndmask_b32 v252, -1, v252, s[56:57]             // LDD clip if OOB. offset
v_accvgpr_read_b32 v[vgprValuC+12], acc15 // copy acc to vreg[120]
v_accvgpr_read_b32 v[vgprValuC+14], acc31 // copy acc to vreg[121]
v_accvgpr_read_b32 v[vgprValuC+16], acc47 // copy acc to vreg[122]
v_accvgpr_read_b32 v[vgprValuC+18], acc63 // copy acc to vreg[123]
v_accvgpr_read_b32 v[vgprValuC+20], acc79 // copy acc to vreg[124]
v_accvgpr_read_b32 v[vgprValuC+22], acc95 // copy acc to vreg[125]
v_accvgpr_read_b32 v[vgprValuC+24], acc111 // copy acc to vreg[126]
v_accvgpr_read_b32 v[vgprValuC+26], acc127 // copy acc to vreg[127]
v_accvgpr_read_b32 v[vgprValuC+28], acc128 // copy acc to vreg[128]
v_accvgpr_read_b32 v[vgprValuC+30], acc144 // copy acc to vreg[129]
v_accvgpr_read_b32 v[vgprValuC+32], acc160 // copy acc to vreg[130]
v_accvgpr_read_b32 v[vgprValuC+34], acc176 // copy acc to vreg[131]
v_accvgpr_read_b32 v[vgprValuC+36], acc192 // copy acc to vreg[132]
v_accvgpr_read_b32 v[vgprValuC+38], acc208 // copy acc to vreg[133]
v_accvgpr_read_b32 v[vgprValuC+40], acc224 // copy acc to vreg[134]
v_accvgpr_read_b32 v[vgprValuC+42], acc240 // copy acc to vreg[135]
v_accvgpr_read_b32 v[vgprValuC+44], acc129 // copy acc to vreg[136]
v_accvgpr_read_b32 v[vgprValuC+46], acc145 // copy acc to vreg[137]
v_accvgpr_read_b32 v[vgprValuC+48], acc161 // copy acc to vreg[138]
v_accvgpr_read_b32 v[vgprValuC+50], acc177 // copy acc to vreg[139]
v_accvgpr_read_b32 v[vgprValuC+52], acc193 // copy acc to vreg[140]
v_accvgpr_read_b32 v[vgprValuC+54], acc209 // copy acc to vreg[141]
v_accvgpr_read_b32 v[vgprValuC+56], acc225 // copy acc to vreg[142]
v_accvgpr_read_b32 v[vgprValuC+58], acc241 // copy acc to vreg[143]
v_accvgpr_read_b32 v[vgprValuC+60], acc130 // copy acc to vreg[144]
v_accvgpr_read_b32 v[vgprValuC+62], acc146 // copy acc to vreg[145]
v_accvgpr_read_b32 v[vgprValuC+64], acc162 // copy acc to vreg[146]
v_accvgpr_read_b32 v[vgprValuC+66], acc178 // copy acc to vreg[147]
v_accvgpr_read_b32 v[vgprValuC+68], acc194 // copy acc to vreg[148]
v_accvgpr_read_b32 v[vgprValuC+70], acc210 // copy acc to vreg[149]
v_accvgpr_read_b32 v[vgprValuC+72], acc226 // copy acc to vreg[150]
v_accvgpr_read_b32 v[vgprValuC+74], acc242 // copy acc to vreg[151]
v_accvgpr_read_b32 v[vgprValuC+76], acc131 // copy acc to vreg[152]
v_accvgpr_read_b32 v[vgprValuC+78], acc147 // copy acc to vreg[153]
v_accvgpr_read_b32 v[vgprValuC+80], acc163 // copy acc to vreg[154]
v_accvgpr_read_b32 v[vgprValuC+82], acc179 // copy acc to vreg[155]
v_accvgpr_read_b32 v[vgprValuC+84], acc195 // copy acc to vreg[156]
v_accvgpr_read_b32 v[vgprValuC+86], acc211 // copy acc to vreg[157]
v_accvgpr_read_b32 v[vgprValuC+88], acc227 // copy acc to vreg[158]
v_accvgpr_read_b32 v[vgprValuC+90], acc243 // copy acc to vreg[159]
v_accvgpr_read_b32 v[vgprValuC+92], acc132 // copy acc to vreg[160]
v_accvgpr_read_b32 v[vgprValuC+94], acc148 // copy acc to vreg[161]
v_accvgpr_read_b32 v[vgprValuC+96], acc164 // copy acc to vreg[162]
v_accvgpr_read_b32 v[vgprValuC+98], acc180 // copy acc to vreg[163]
v_accvgpr_read_b32 v[vgprValuC+100], acc196 // copy acc to vreg[164]
v_accvgpr_read_b32 v[vgprValuC+102], acc212 // copy acc to vreg[165]
v_accvgpr_read_b32 v[vgprValuC+104], acc228 // copy acc to vreg[166]
v_accvgpr_read_b32 v[vgprValuC+106], acc244 // copy acc to vreg[167]
v_accvgpr_read_b32 v[vgprValuC+108], acc133 // copy acc to vreg[168]
v_accvgpr_read_b32 v[vgprValuC+110], acc149 // copy acc to vreg[169]
v_accvgpr_read_b32 v[vgprValuC+112], acc165 // copy acc to vreg[170]
v_accvgpr_read_b32 v[vgprValuC+114], acc181 // copy acc to vreg[171]
v_accvgpr_read_b32 v[vgprValuC+119], acc197 // copy acc to vreg[172]
v_accvgpr_read_b32 v[vgprValuC+121], acc213 // copy acc to vreg[173]
v_accvgpr_read_b32 v[vgprValuC+123], acc229 // copy acc to vreg[174]
v_accvgpr_read_b32 v[vgprValuC+125], acc245 // copy acc to vreg[175]
v_accvgpr_read_b32 v[vgprValuC+127], acc134 // copy acc to vreg[176]
v_accvgpr_read_b32 v[vgprValuC+129], acc150 // copy acc to vreg[177]
v_accvgpr_read_b32 v[vgprValuC+131], acc166 // copy acc to vreg[178]
v_accvgpr_read_b32 v[vgprValuC+133], acc182 // copy acc to vreg[179]
v_accvgpr_read_b32 v[vgprValuC+135], acc198 // copy acc to vreg[180]
v_accvgpr_read_b32 v[vgprValuC+137], acc214 // copy acc to vreg[181]
v_accvgpr_read_b32 v[vgprValuC+139], acc230 // copy acc to vreg[182]
v_accvgpr_read_b32 v[vgprValuC+141], acc246 // copy acc to vreg[183]
v_accvgpr_read_b32 v[vgprValuC+143], acc135 // copy acc to vreg[184]
v_accvgpr_read_b32 v[vgprValuC+145], acc151 // copy acc to vreg[185]
v_accvgpr_read_b32 v[vgprValuC+147], acc167 // copy acc to vreg[186]
v_accvgpr_read_b32 v[vgprValuC+149], acc183 // copy acc to vreg[187]
v_accvgpr_read_b32 v[vgprValuC+151], acc199 // copy acc to vreg[188]
v_accvgpr_read_b32 v[vgprValuC+153], acc215 // copy acc to vreg[189]
v_accvgpr_read_b32 v[vgprValuC+155], acc231 // copy acc to vreg[190]
v_accvgpr_read_b32 v[vgprValuC+157], acc247 // copy acc to vreg[191]
v_accvgpr_read_b32 v[vgprValuC+159], acc136 // copy acc to vreg[192]
v_accvgpr_read_b32 v[vgprValuC+161], acc152 // copy acc to vreg[193]
v_accvgpr_read_b32 v[vgprValuC+163], acc168 // copy acc to vreg[194]
v_accvgpr_read_b32 v[vgprValuC+165], acc184 // copy acc to vreg[195]
v_accvgpr_read_b32 v[vgprValuC+167], acc200 // copy acc to vreg[196]
v_accvgpr_read_b32 v[vgprValuC+169], acc216 // copy acc to vreg[197]
v_accvgpr_read_b32 v[vgprValuC+171], acc232 // copy acc to vreg[198]
v_accvgpr_read_b32 v[vgprValuC+173], acc248 // copy acc to vreg[199]
v_accvgpr_read_b32 v[vgprValuC+175], acc137 // copy acc to vreg[200]
v_accvgpr_read_b32 v[vgprValuC+177], acc153 // copy acc to vreg[201]
v_accvgpr_read_b32 v[vgprValuC+179], acc169 // copy acc to vreg[202]
v_accvgpr_read_b32 v[vgprValuC+181], acc185 // copy acc to vreg[203]
v_accvgpr_read_b32 v[vgprValuC+183], acc201 // copy acc to vreg[204]
v_accvgpr_read_b32 v[vgprValuC+185], acc217 // copy acc to vreg[205]
v_accvgpr_read_b32 v[vgprValuC+187], acc233 // copy acc to vreg[206]
v_accvgpr_read_b32 v[vgprValuC+189], acc249 // copy acc to vreg[207]
v_accvgpr_read_b32 v[vgprValuC+191], acc138 // copy acc to vreg[208]
v_accvgpr_read_b32 v[vgprValuC+193], acc154 // copy acc to vreg[209]
v_accvgpr_read_b32 v[vgprValuC+195], acc170 // copy acc to vreg[210]
v_accvgpr_read_b32 v[vgprValuC+197], acc186 // copy acc to vreg[211]
v_accvgpr_read_b32 v[vgprValuC+199], acc202 // copy acc to vreg[212]
v_accvgpr_read_b32 v[vgprValuC+201], acc218 // copy acc to vreg[213]
v_accvgpr_read_b32 v[vgprValuC+203], acc234 // copy acc to vreg[214]
v_accvgpr_read_b32 v[vgprValuC+205], acc250 // copy acc to vreg[215]
v_accvgpr_read_b32 v[vgprValuC+207], acc139 // copy acc to vreg[216]
v_accvgpr_read_b32 v[vgprValuC+209], acc155 // copy acc to vreg[217]
v_accvgpr_read_b32 v[vgprValuC+211], acc171 // copy acc to vreg[218]
v_accvgpr_read_b32 v[vgprValuC+213], acc187 // copy acc to vreg[219]
v_accvgpr_read_b32 v[vgprValuC+215], acc203 // copy acc to vreg[220]
v_accvgpr_read_b32 v[vgprValuC+217], acc219 // copy acc to vreg[221]
v_accvgpr_read_b32 v[vgprValuC+219], acc235 // copy acc to vreg[222]
v_accvgpr_read_b32 v[vgprValuC+221], acc251 // copy acc to vreg[223]
v_accvgpr_read_b32 v[vgprValuC+223], acc140 // copy acc to vreg[224]
v_accvgpr_read_b32 v[vgprValuC+225], acc156 // copy acc to vreg[225]
v_accvgpr_read_b32 v[vgprValuC+227], acc172 // copy acc to vreg[226]
v_accvgpr_read_b32 v[vgprValuC+229], acc188 // copy acc to vreg[227]
v_accvgpr_read_b32 v[vgprValuC+231], acc204 // copy acc to vreg[228]
v_accvgpr_read_b32 v[vgprValuC+233], acc220 // copy acc to vreg[229]
v_accvgpr_read_b32 v[vgprValuC+235], acc236 // copy acc to vreg[230]
v_accvgpr_read_b32 v[vgprValuC+237], acc252 // copy acc to vreg[231]
v_accvgpr_read_b32 v[vgprValuC+239], acc141 // copy acc to vreg[232]
v_accvgpr_read_b32 v[vgprValuC+241], acc157 // copy acc to vreg[233]
v_accvgpr_read_b32 v[vgprValuC+243], acc173 // copy acc to vreg[234]
v_accvgpr_read_b32 v[vgprValuC+245], acc189 // copy acc to vreg[235]
v_accvgpr_read_b32 v[vgprValuC+247], acc205 // copy acc to vreg[236]
v_accvgpr_read_b32 v[vgprValuC+249], acc221 // copy acc to vreg[237]
v_accvgpr_read_b32 v[vgprValuC+251], acc237 // copy acc to vreg[238]
v_accvgpr_read_b32 v[vgprValuC+253], acc253 // copy acc to vreg[239]
s_nop 1                                            // 2 wait states required before reading vgpr

/* rC *= alpha batchElements=[(3, 0, 3, 0), (3, 1, 3, 0), (3, 2, 3, 0), (3, 3, 3, 0), (3, 4, 3, 0), (3, 5, 3, 0), (3, 6, 3, 0), (3, 7, 3, 0), (4, 0, 0, 0), (4, 1, 0, 0), (4, 2, 0, 0), (4, 3, 0, 0), (4, 4, 0, 0), (4, 5, 0, 0), (4, 6, 0, 0), (4, 7, 0, 0), (4, 0, 1, 0), (4, 1, 1, 0), (4, 2, 1, 0), (4, 3, 1, 0), (4, 4, 1, 0), (4, 5, 1, 0), (4, 6, 1, 0), (4, 7, 1, 0), (4, 0, 2, 0), (4, 1, 2, 0), (4, 2, 2, 0), (4, 3, 2, 0), (4, 4, 2, 0), (4, 5, 2, 0), (4, 6, 2, 0), (4, 7, 2, 0), (4, 0, 3, 0), (4, 1, 3, 0), (4, 2, 3, 0), (4, 3, 3, 0), (4, 4, 3, 0), (4, 5, 3, 0), (4, 6, 3, 0), (4, 7, 3, 0), (5, 0, 0, 0), (5, 1, 0, 0), (5, 2, 0, 0), (5, 3, 0, 0), (5, 4, 0, 0), (5, 5, 0, 0), (5, 6, 0, 0), (5, 7, 0, 0), (5, 0, 1, 0), (5, 1, 1, 0), (5, 2, 1, 0), (5, 3, 1, 0), (5, 4, 1, 0), (5, 5, 1, 0), (5, 6, 1, 0), (5, 7, 1, 0), (5, 0, 2, 0), (5, 1, 2, 0), (5, 2, 2, 0), (5, 3, 2, 0), (5, 4, 2, 0), (5, 5, 2, 0), (5, 6, 2, 0), (5, 7, 2, 0), (5, 0, 3, 0), (5, 1, 3, 0), (5, 2, 3, 0), (5, 3, 3, 0), (5, 4, 3, 0), (5, 5, 3, 0), (5, 6, 3, 0), (5, 7, 3, 0), (6, 0, 0, 0), (6, 1, 0, 0), (6, 2, 0, 0), (6, 3, 0, 0), (6, 4, 0, 0), (6, 5, 0, 0), (6, 6, 0, 0), (6, 7, 0, 0), (6, 0, 1, 0), (6, 1, 1, 0), (6, 2, 1, 0), (6, 3, 1, 0), (6, 4, 1, 0), (6, 5, 1, 0), (6, 6, 1, 0), (6, 7, 1, 0), (6, 0, 2, 0), (6, 1, 2, 0), (6, 2, 2, 0), (6, 3, 2, 0), (6, 4, 2, 0), (6, 5, 2, 0), (6, 6, 2, 0), (6, 7, 2, 0), (6, 0, 3, 0), (6, 1, 3, 0), (6, 2, 3, 0), (6, 3, 3, 0), (6, 4, 3, 0), (6, 5, 3, 0), (6, 6, 3, 0), (6, 7, 3, 0), (7, 0, 0, 0), (7, 1, 0, 0), (7, 2, 0, 0), (7, 3, 0, 0), (7, 4, 0, 0), (7, 5, 0, 0), (7, 6, 0, 0), (7, 7, 0, 0), (7, 0, 1, 0), (7, 1, 1, 0), (7, 2, 1, 0), (7, 3, 1, 0), (7, 4, 1, 0), (7, 5, 1, 0), (7, 6, 1, 0), (7, 7, 1, 0)] */
v_mul_f32 v[vgprValuC+12], s[sgprAlpha], v[vgprValuC+12] // *= alpha
v_mul_f32 v[vgprValuC+14], s[sgprAlpha], v[vgprValuC+14] // *= alpha
	;; [unrolled: 1-line block ×120, first 2 shown]

/* apply mask, calc new C and issue writes */
v_mov_b32 v10, 0x207                               // flag for Nan and +/- inf
v_mov_b32 v8, 0x47600000                           // save 57344.0f as max for clipping
v_mov_b32 v9, 0xC7600000                           // save -57344`.0f as min for clipping
v_cmp_class_f32 s[52:53], v[vgprValuC+12], v10     // check NaN and +/-INF
v_med3_f32 v6, v[vgprValuC+12], v8, v9             // Clipping f32 value if exceeds the limit
v_cndmask_b32 v6, v6, v[vgprValuC+12], s[52:53]    // 
v_cvt_pk_bf8_f32  v12, v6, v6                      // convert f32 accumulated values to fp8
buffer_store_byte v12, v11, s[sgprSrdD:sgprSrdD+3], 0, offen, offset:0,  sc0 sc1 // store D
v_cmp_class_f32 s[52:53], v[vgprValuC+14], v10     // check NaN and +/-INF
v_med3_f32 v6, v[vgprValuC+14], v8, v9             // Clipping f32 value if exceeds the limit
v_cndmask_b32 v6, v6, v[vgprValuC+14], s[52:53]    // 
v_cvt_pk_bf8_f32  v14, v6, v6                      // convert f32 accumulated values to fp8
buffer_store_byte v14, v13, s[sgprSrdD:sgprSrdD+3], 0, offen, offset:0,  sc0 sc1 // store D
	;; [unrolled: 5-line block ×44, first 2 shown]
v_cmp_class_f32 s[52:53], v[vgprValuC+100], v10    // check NaN and +/-INF
v_med3_f32 v6, v[vgprValuC+100], v8, v9            // Clipping f32 value if exceeds the limit
v_cndmask_b32 v6, v6, v[vgprValuC+100], s[52:53]   // 
v_cvt_pk_bf8_f32  v100, v6, v6                     // convert f32 accumulated values to fp8
buffer_store_byte v100, v99, s[sgprSrdD:sgprSrdD+3], 0, offen, offset:0,  sc0 sc1 // store D
v_cmp_class_f32 s[52:53], v[vgprValuC+102], v10    // check NaN and +/-INF
v_med3_f32 v6, v[vgprValuC+102], v8, v9            // Clipping f32 value if exceeds the limit
v_cndmask_b32 v6, v6, v[vgprValuC+102], s[52:53]   // 
v_cvt_pk_bf8_f32  v102, v6, v6                     // convert f32 accumulated values to fp8
buffer_store_byte v102, v101, s[sgprSrdD:sgprSrdD+3], 0, offen, offset:0,  sc0 sc1 // store D
	;; [unrolled: 5-line block ×76, first 2 shown]
s_nop 0                                            // 1 wait state required when next inst writes vgprs held by previous dwordx4 store inst
/* optSingleColVgpr=0 optSharedColVgpr=0 optSGPRUsage=BufferLoad_Edge_Mask optSrdIncForRow=0 */
s_sleep 3 // optimization: sync and wait
s_barrier

/******************************************/
/* Global Write Alpha Edge Batch #2 (d1,d0,vc1,vc0) = */
/*    (7,0,2,0:vw1); (7,1,2,0:vw1); (7,2,2,0:vw1); (7,3,2,0:vw1); (7,4,2,0:vw1); (7,5,2,0:vw1); (7,6,2,0:vw1); (7,7,2,0:vw1); (7,0,3,0:vw1); (7,1,3,0:vw1); (7,2,3,0:vw1); (7,3,3,0:vw1); (7,4,3,0:vw1); (7,5,3,0:vw1); (7,6,3,0:vw1); (7,7,3,0:vw1) */
/******************************************/

/* calc coords, apply mask, and issue loads (if necessary) */
/* (d1,vc1,d0,vc0)=(7,2,0,0) */
_v_add_co_u32 v1, vcc, v1, 1                       // coord1.1: coord1Vgpr += d1*sg1*VW + vc1

/* Fix for UseInitialStridesCD, emitAddressSetupCode */
_v_add_u32 v2, v2, s[sgprStrideC1J]                // ROWINC- Move cinRowPtr to next row
_v_add_u32 v3, v3, s[sgprStrideD1J]                // Move coutRowPtr to next row
v_cmp_lt_u32 s[52:53], v0, s[sgprSizeI]            // coord0 < size0
v_cmp_lt_u32 s[56:57], v1, s[sgprSizeJ]            // coord1 < size1
s_and_b64 s[56:57], s[52:53], s[56:57]             // in0 && in1
_v_add_lshl_u32 v11, v3, v0, 0x0                   // scaleToBpe: accumulate d0 lower and *= bpe into Cin addr
v_cndmask_b32 v11, -1, v11, s[56:57]               // LDD clip if OOB. offset
/* (d1,vc1,d0,vc0)=(7,2,1,0) */
_v_add_co_u32 v4, vcc, v0, 32                      // coord0.1: coord0 += d0*sg0*VW + vc0
v_cmp_lt_u32 s[52:53], v4, s[sgprSizeI]            // coord0 < size0
v_cmp_lt_u32 s[56:57], v1, s[sgprSizeJ]            // coord1 < size1
s_and_b64 s[56:57], s[52:53], s[56:57]             // in0 && in1
_v_add_lshl_u32 v13, v3, v4, 0x0                   // scaleToBpe: accumulate d0 lower and *= bpe into Cin addr
v_cndmask_b32 v13, -1, v13, s[56:57]               // LDD clip if OOB. offset
/* (d1,vc1,d0,vc0)=(7,2,2,0) */
_v_add_co_u32 v4, vcc, v0, 64                      // coord0.1: coord0 += d0*sg0*VW + vc0
v_cmp_lt_u32 s[52:53], v4, s[sgprSizeI]            // coord0 < size0
v_cmp_lt_u32 s[56:57], v1, s[sgprSizeJ]            // coord1 < size1
s_and_b64 s[56:57], s[52:53], s[56:57]             // in0 && in1
_v_add_lshl_u32 v15, v3, v4, 0x0                   // scaleToBpe: accumulate d0 lower and *= bpe into Cin addr
v_cndmask_b32 v15, -1, v15, s[56:57]               // LDD clip if OOB. offset
/* (d1,vc1,d0,vc0)=(7,2,3,0) */
s_mov_b32 s52, 96                                  // coordOffset0 d0=3 vc0=0
_v_add_co_u32 v4, vcc, v0, s52                     // coord0.2: coord0 += d0*sg0*VW + vc0
v_cmp_lt_u32 s[52:53], v4, s[sgprSizeI]            // coord0 < size0
v_cmp_lt_u32 s[56:57], v1, s[sgprSizeJ]            // coord1 < size1
s_and_b64 s[56:57], s[52:53], s[56:57]             // in0 && in1
_v_add_lshl_u32 v17, v3, v4, 0x0                   // scaleToBpe: accumulate d0 lower and *= bpe into Cin addr
v_cndmask_b32 v17, -1, v17, s[56:57]               // LDD clip if OOB. offset
/* (d1,vc1,d0,vc0)=(7,2,4,0) */
s_mov_b32 s52, 128                                 // coordOffset0 d0=4 vc0=0
_v_add_co_u32 v4, vcc, v0, s52                     // coord0.2: coord0 += d0*sg0*VW + vc0
v_cmp_lt_u32 s[52:53], v4, s[sgprSizeI]            // coord0 < size0
v_cmp_lt_u32 s[56:57], v1, s[sgprSizeJ]            // coord1 < size1
s_and_b64 s[56:57], s[52:53], s[56:57]             // in0 && in1
_v_add_lshl_u32 v19, v3, v4, 0x0                   // scaleToBpe: accumulate d0 lower and *= bpe into Cin addr
v_cndmask_b32 v19, -1, v19, s[56:57]               // LDD clip if OOB. offset
/* (d1,vc1,d0,vc0)=(7,2,5,0) */
s_mov_b32 s52, 160                                 // coordOffset0 d0=5 vc0=0
	;; [unrolled: 8-line block ×4, first 2 shown]
_v_add_co_u32 v4, vcc, v0, s52                     // coord0.2: coord0 += d0*sg0*VW + vc0
v_cmp_lt_u32 s[52:53], v4, s[sgprSizeI]            // coord0 < size0
v_cmp_lt_u32 s[56:57], v1, s[sgprSizeJ]            // coord1 < size1
s_and_b64 s[56:57], s[52:53], s[56:57]             // in0 && in1
_v_add_lshl_u32 v25, v3, v4, 0x0                   // scaleToBpe: accumulate d0 lower and *= bpe into Cin addr
v_cndmask_b32 v25, -1, v25, s[56:57]               // LDD clip if OOB. offset
/* (d1,vc1,d0,vc0)=(7,3,0,0) */
_v_add_co_u32 v1, vcc, v1, 1                       // coord1.1: coord1Vgpr += d1*sg1*VW + vc1

/* Fix for UseInitialStridesCD, emitAddressSetupCode */
_v_add_u32 v2, v2, s[sgprStrideC1J]                // ROWINC- Move cinRowPtr to next row
_v_add_u32 v3, v3, s[sgprStrideD1J]                // Move coutRowPtr to next row
v_cmp_lt_u32 s[52:53], v0, s[sgprSizeI]            // coord0 < size0
v_cmp_lt_u32 s[56:57], v1, s[sgprSizeJ]            // coord1 < size1
s_and_b64 s[56:57], s[52:53], s[56:57]             // in0 && in1
_v_add_lshl_u32 v27, v3, v0, 0x0                   // scaleToBpe: accumulate d0 lower and *= bpe into Cin addr
v_cndmask_b32 v27, -1, v27, s[56:57]               // LDD clip if OOB. offset
/* (d1,vc1,d0,vc0)=(7,3,1,0) */
_v_add_co_u32 v4, vcc, v0, 32                      // coord0.1: coord0 += d0*sg0*VW + vc0
v_cmp_lt_u32 s[52:53], v4, s[sgprSizeI]            // coord0 < size0
v_cmp_lt_u32 s[56:57], v1, s[sgprSizeJ]            // coord1 < size1
s_and_b64 s[56:57], s[52:53], s[56:57]             // in0 && in1
_v_add_lshl_u32 v29, v3, v4, 0x0                   // scaleToBpe: accumulate d0 lower and *= bpe into Cin addr
v_cndmask_b32 v29, -1, v29, s[56:57]               // LDD clip if OOB. offset
/* (d1,vc1,d0,vc0)=(7,3,2,0) */
_v_add_co_u32 v4, vcc, v0, 64                      // coord0.1: coord0 += d0*sg0*VW + vc0
v_cmp_lt_u32 s[52:53], v4, s[sgprSizeI]            // coord0 < size0
v_cmp_lt_u32 s[56:57], v1, s[sgprSizeJ]            // coord1 < size1
s_and_b64 s[56:57], s[52:53], s[56:57]             // in0 && in1
_v_add_lshl_u32 v31, v3, v4, 0x0                   // scaleToBpe: accumulate d0 lower and *= bpe into Cin addr
v_cndmask_b32 v31, -1, v31, s[56:57]               // LDD clip if OOB. offset
/* (d1,vc1,d0,vc0)=(7,3,3,0) */
s_mov_b32 s52, 96                                  // coordOffset0 d0=3 vc0=0
_v_add_co_u32 v4, vcc, v0, s52                     // coord0.2: coord0 += d0*sg0*VW + vc0
v_cmp_lt_u32 s[52:53], v4, s[sgprSizeI]            // coord0 < size0
v_cmp_lt_u32 s[56:57], v1, s[sgprSizeJ]            // coord1 < size1
s_and_b64 s[56:57], s[52:53], s[56:57]             // in0 && in1
_v_add_lshl_u32 v33, v3, v4, 0x0                   // scaleToBpe: accumulate d0 lower and *= bpe into Cin addr
v_cndmask_b32 v33, -1, v33, s[56:57]               // LDD clip if OOB. offset
/* (d1,vc1,d0,vc0)=(7,3,4,0) */
s_mov_b32 s52, 128                                 // coordOffset0 d0=4 vc0=0
_v_add_co_u32 v4, vcc, v0, s52                     // coord0.2: coord0 += d0*sg0*VW + vc0
v_cmp_lt_u32 s[52:53], v4, s[sgprSizeI]            // coord0 < size0
v_cmp_lt_u32 s[56:57], v1, s[sgprSizeJ]            // coord1 < size1
s_and_b64 s[56:57], s[52:53], s[56:57]             // in0 && in1
_v_add_lshl_u32 v35, v3, v4, 0x0                   // scaleToBpe: accumulate d0 lower and *= bpe into Cin addr
v_cndmask_b32 v35, -1, v35, s[56:57]               // LDD clip if OOB. offset
/* (d1,vc1,d0,vc0)=(7,3,5,0) */
s_mov_b32 s52, 160                                 // coordOffset0 d0=5 vc0=0
	;; [unrolled: 8-line block ×4, first 2 shown]
_v_add_co_u32 v4, vcc, v0, s52                     // coord0.2: coord0 += d0*sg0*VW + vc0
v_cmp_lt_u32 s[52:53], v4, s[sgprSizeI]            // coord0 < size0
v_cmp_lt_u32 s[56:57], v1, s[sgprSizeJ]            // coord1 < size1
s_and_b64 s[56:57], s[52:53], s[56:57]             // in0 && in1
_v_add_lshl_u32 v41, v3, v4, 0x0                   // scaleToBpe: accumulate d0 lower and *= bpe into Cin addr
v_cndmask_b32 v41, -1, v41, s[56:57]               // LDD clip if OOB. offset
v_accvgpr_read_b32 v[vgprValuC+12], acc142 // copy acc to vreg[240]
v_accvgpr_read_b32 v[vgprValuC+14], acc158 // copy acc to vreg[241]
v_accvgpr_read_b32 v[vgprValuC+16], acc174 // copy acc to vreg[242]
v_accvgpr_read_b32 v[vgprValuC+18], acc190 // copy acc to vreg[243]
v_accvgpr_read_b32 v[vgprValuC+20], acc206 // copy acc to vreg[244]
v_accvgpr_read_b32 v[vgprValuC+22], acc222 // copy acc to vreg[245]
v_accvgpr_read_b32 v[vgprValuC+24], acc238 // copy acc to vreg[246]
v_accvgpr_read_b32 v[vgprValuC+26], acc254 // copy acc to vreg[247]
v_accvgpr_read_b32 v[vgprValuC+28], acc143 // copy acc to vreg[248]
v_accvgpr_read_b32 v[vgprValuC+30], acc159 // copy acc to vreg[249]
v_accvgpr_read_b32 v[vgprValuC+32], acc175 // copy acc to vreg[250]
v_accvgpr_read_b32 v[vgprValuC+34], acc191 // copy acc to vreg[251]
v_accvgpr_read_b32 v[vgprValuC+36], acc207 // copy acc to vreg[252]
v_accvgpr_read_b32 v[vgprValuC+38], acc223 // copy acc to vreg[253]
v_accvgpr_read_b32 v[vgprValuC+40], acc239 // copy acc to vreg[254]
v_accvgpr_read_b32 v[vgprValuC+42], acc255 // copy acc to vreg[255]
s_nop 1                                            // 2 wait states required before reading vgpr

/* rC *= alpha batchElements=[(7, 0, 2, 0), (7, 1, 2, 0), (7, 2, 2, 0), (7, 3, 2, 0), (7, 4, 2, 0), (7, 5, 2, 0), (7, 6, 2, 0), (7, 7, 2, 0), (7, 0, 3, 0), (7, 1, 3, 0), (7, 2, 3, 0), (7, 3, 3, 0), (7, 4, 3, 0), (7, 5, 3, 0), (7, 6, 3, 0), (7, 7, 3, 0)] */
v_mul_f32 v[vgprValuC+12], s[sgprAlpha], v[vgprValuC+12] // *= alpha
v_mul_f32 v[vgprValuC+14], s[sgprAlpha], v[vgprValuC+14] // *= alpha
	;; [unrolled: 1-line block ×16, first 2 shown]

/* apply mask, calc new C and issue writes */
v_mov_b32 v10, 0x207                               // flag for Nan and +/- inf
v_mov_b32 v8, 0x47600000                           // save 57344.0f as max for clipping
v_mov_b32 v9, 0xC7600000                           // save -57344`.0f as min for clipping
v_cmp_class_f32 s[52:53], v[vgprValuC+12], v10     // check NaN and +/-INF
v_med3_f32 v6, v[vgprValuC+12], v8, v9             // Clipping f32 value if exceeds the limit
v_cndmask_b32 v6, v6, v[vgprValuC+12], s[52:53]    // 
v_cvt_pk_bf8_f32  v12, v6, v6                      // convert f32 accumulated values to fp8
buffer_store_byte v12, v11, s[sgprSrdD:sgprSrdD+3], 0, offen, offset:0,  sc0 sc1 // store D
v_cmp_class_f32 s[52:53], v[vgprValuC+14], v10     // check NaN and +/-INF
v_med3_f32 v6, v[vgprValuC+14], v8, v9             // Clipping f32 value if exceeds the limit
v_cndmask_b32 v6, v6, v[vgprValuC+14], s[52:53]    // 
v_cvt_pk_bf8_f32  v14, v6, v6                      // convert f32 accumulated values to fp8
buffer_store_byte v14, v13, s[sgprSrdD:sgprSrdD+3], 0, offen, offset:0,  sc0 sc1 // store D
	;; [unrolled: 5-line block ×16, first 2 shown]
s_nop 0                                            // 1 wait state required when next inst writes vgprs held by previous dwordx4 store inst
s_branch label_GW_End_42                           // jump to end
GW_Beta_43:
s_and_b32 s52, 255, s[sgprSizeI]                   // s52 = s[sgprSizeI] % 256
s_add_u32 s53, -0x1, s[sgprNumWorkGroups0]         // 
s_cmp_ge_u32 s[sgprWorkGroup0], s53                // wg0 >= nwg0-1 ?
s_cselect_b32 s52, s52, 0                          // set rMT0
s_cmpk_gt_u32 s52, 0x0                             // rMT0 > 0
s_cbranch_scc1 GW_B1_E1_41                         // jump if edges required
s_and_b32 s52, 255, s[sgprSizeJ]                   // s52 = s[sgprSizeJ] % 256
s_add_u32 s53, -0x1, s[sgprNumWorkGroups1]         // 
s_cmp_ge_u32 s[sgprWorkGroup1], s53                // wg1 >= nwg1-1
s_cselect_b32 s52, s52, 0                          // set rMT1
s_cmpk_gt_u32 s52, 0x0                             // rMT1 > 0
s_cbranch_scc1 GW_B1_E1_41                         // jump if edges required
GW_B1_E0_38:

/* edge=0, allocate 2 sgpr. perBatchTmpS=2 perBatchMaskS=0 perElementMaskS=0 elementsPerBatch=119 */
/* optSingleColVgpr=1 optSharedColVgpr=0 optSGPRUsage=BufferLoad_Mask optSrdIncForRow=1 */
s_sleep 3 // optimization: sync and wait
s_barrier

/******************************************/
/* Global Write Alpha Beta Batch #0 (d1,d0,vc1,vc0) = */
/*    (0,0,0,0:vw1); (0,1,0,0:vw1); (0,2,0,0:vw1); (0,3,0,0:vw1); (0,4,0,0:vw1); (0,5,0,0:vw1); (0,6,0,0:vw1); (0,7,0,0:vw1); (0,0,1,0:vw1); (0,1,1,0:vw1); (0,2,1,0:vw1); (0,3,1,0:vw1); (0,4,1,0:vw1); (0,5,1,0:vw1); (0,6,1,0:vw1); (0,7,1,0:vw1); (0,0,2,0:vw1); (0,1,2,0:vw1); (0,2,2,0:vw1); (0,3,2,0:vw1); (0,4,2,0:vw1); (0,5,2,0:vw1); (0,6,2,0:vw1); (0,7,2,0:vw1); (0,0,3,0:vw1); (0,1,3,0:vw1); (0,2,3,0:vw1); (0,3,3,0:vw1); (0,4,3,0:vw1); (0,5,3,0:vw1); (0,6,3,0:vw1); (0,7,3,0:vw1); (1,0,0,0:vw1); (1,1,0,0:vw1); (1,2,0,0:vw1); (1,3,0,0:vw1); (1,4,0,0:vw1); (1,5,0,0:vw1); (1,6,0,0:vw1); (1,7,0,0:vw1); (1,0,1,0:vw1); (1,1,1,0:vw1); (1,2,1,0:vw1); (1,3,1,0:vw1); (1,4,1,0:vw1); (1,5,1,0:vw1); (1,6,1,0:vw1); (1,7,1,0:vw1); (1,0,2,0:vw1); (1,1,2,0:vw1); (1,2,2,0:vw1); (1,3,2,0:vw1); (1,4,2,0:vw1); (1,5,2,0:vw1); (1,6,2,0:vw1); (1,7,2,0:vw1); (1,0,3,0:vw1); (1,1,3,0:vw1); (1,2,3,0:vw1); (1,3,3,0:vw1); (1,4,3,0:vw1); (1,5,3,0:vw1); (1,6,3,0:vw1); (1,7,3,0:vw1); (2,0,0,0:vw1); (2,1,0,0:vw1); (2,2,0,0:vw1); (2,3,0,0:vw1); (2,4,0,0:vw1); (2,5,0,0:vw1); (2,6,0,0:vw1); (2,7,0,0:vw1); (2,0,1,0:vw1); (2,1,1,0:vw1); (2,2,1,0:vw1); (2,3,1,0:vw1); (2,4,1,0:vw1); (2,5,1,0:vw1); (2,6,1,0:vw1); (2,7,1,0:vw1); (2,0,2,0:vw1); (2,1,2,0:vw1); (2,2,2,0:vw1); (2,3,2,0:vw1); (2,4,2,0:vw1); (2,5,2,0:vw1); (2,6,2,0:vw1); (2,7,2,0:vw1); (2,0,3,0:vw1); (2,1,3,0:vw1); (2,2,3,0:vw1); (2,3,3,0:vw1); (2,4,3,0:vw1); (2,5,3,0:vw1); (2,6,3,0:vw1); (2,7,3,0:vw1); (3,0,0,0:vw1); (3,1,0,0:vw1); (3,2,0,0:vw1); (3,3,0,0:vw1); (3,4,0,0:vw1); (3,5,0,0:vw1); (3,6,0,0:vw1); (3,7,0,0:vw1); (3,0,1,0:vw1); (3,1,1,0:vw1); (3,2,1,0:vw1); (3,3,1,0:vw1); (3,4,1,0:vw1); (3,5,1,0:vw1); (3,6,1,0:vw1); (3,7,1,0:vw1); (3,0,2,0:vw1); (3,1,2,0:vw1); (3,2,2,0:vw1); (3,3,2,0:vw1); (3,4,2,0:vw1); (3,5,2,0:vw1); (3,6,2,0:vw1) */
/******************************************/

/* calc coords, apply mask, and issue loads (if necessary) */
/* (d1,vc1,d0,vc0)=(0,0,0,0) */
_v_add_lshl_u32 v12, v2, v0, 0x0                   // optSingleColVgpr scaleToBpe: sharedAddrVgpr <- cinRowPtr + coord0, scaled by BPE. BSHERE:coord0=0, coord0Vgpr=0
buffer_load_ubyte v13, v12, s[sgprSrdC:sgprSrdC+3], 0, offen offset:0,  sc0 sc1 // load C for beta calc
/* (d1,vc1,d0,vc0)=(0,0,1,0) */
buffer_load_ubyte v15, v12, s[sgprSrdC:sgprSrdC+3], 0, offen offset:32,  sc0 sc1 // load C for beta calc
/* (d1,vc1,d0,vc0)=(0,0,2,0) */
buffer_load_ubyte v17, v12, s[sgprSrdC:sgprSrdC+3], 0, offen offset:64,  sc0 sc1 // load C for beta calc
/* (d1,vc1,d0,vc0)=(0,0,3,0) */
buffer_load_ubyte v19, v12, s[sgprSrdC:sgprSrdC+3], 0, offen offset:96,  sc0 sc1 // load C for beta calc
/* (d1,vc1,d0,vc0)=(0,0,4,0) */
buffer_load_ubyte v21, v12, s[sgprSrdC:sgprSrdC+3], 0, offen offset:128,  sc0 sc1 // load C for beta calc
/* (d1,vc1,d0,vc0)=(0,0,5,0) */
buffer_load_ubyte v23, v12, s[sgprSrdC:sgprSrdC+3], 0, offen offset:160,  sc0 sc1 // load C for beta calc
/* (d1,vc1,d0,vc0)=(0,0,6,0) */
buffer_load_ubyte v25, v12, s[sgprSrdC:sgprSrdC+3], 0, offen offset:192,  sc0 sc1 // load C for beta calc
/* (d1,vc1,d0,vc0)=(0,0,7,0) */
buffer_load_ubyte v27, v12, s[sgprSrdC:sgprSrdC+3], 0, offen offset:224,  sc0 sc1 // load C for beta calc
/* (d1,vc1,d0,vc0)=(0,1,0,0) */
s_lshl_b32  s34, s[sgprStrideC1J], 0               // incToNextRow: Scale by BPE
s_add_u32  s[sgprSrdC+0], s[sgprSrdC+0], s34       // incToNextRow: gra SRD += inc(lower)
s_addc_u32  s[sgprSrdC+1], s[sgprSrdC+1], 0        // incToNextRow: gra SRD += inc(upper)
buffer_load_ubyte v29, v12, s[sgprSrdC:sgprSrdC+3], 0, offen offset:0,  sc0 sc1 // load C for beta calc
/* (d1,vc1,d0,vc0)=(0,1,1,0) */
buffer_load_ubyte v31, v12, s[sgprSrdC:sgprSrdC+3], 0, offen offset:32,  sc0 sc1 // load C for beta calc
/* (d1,vc1,d0,vc0)=(0,1,2,0) */
buffer_load_ubyte v33, v12, s[sgprSrdC:sgprSrdC+3], 0, offen offset:64,  sc0 sc1 // load C for beta calc
/* (d1,vc1,d0,vc0)=(0,1,3,0) */
buffer_load_ubyte v35, v12, s[sgprSrdC:sgprSrdC+3], 0, offen offset:96,  sc0 sc1 // load C for beta calc
/* (d1,vc1,d0,vc0)=(0,1,4,0) */
buffer_load_ubyte v37, v12, s[sgprSrdC:sgprSrdC+3], 0, offen offset:128,  sc0 sc1 // load C for beta calc
/* (d1,vc1,d0,vc0)=(0,1,5,0) */
buffer_load_ubyte v39, v12, s[sgprSrdC:sgprSrdC+3], 0, offen offset:160,  sc0 sc1 // load C for beta calc
/* (d1,vc1,d0,vc0)=(0,1,6,0) */
buffer_load_ubyte v41, v12, s[sgprSrdC:sgprSrdC+3], 0, offen offset:192,  sc0 sc1 // load C for beta calc
/* (d1,vc1,d0,vc0)=(0,1,7,0) */
buffer_load_ubyte v43, v12, s[sgprSrdC:sgprSrdC+3], 0, offen offset:224,  sc0 sc1 // load C for beta calc
/* (d1,vc1,d0,vc0)=(0,2,0,0) */
s_lshl_b32  s34, s[sgprStrideC1J], 0               // incToNextRow: Scale by BPE
s_add_u32  s[sgprSrdC+0], s[sgprSrdC+0], s34       // incToNextRow: gra SRD += inc(lower)
s_addc_u32  s[sgprSrdC+1], s[sgprSrdC+1], 0        // incToNextRow: gra SRD += inc(upper)
	;; [unrolled: 19-line block ×3, first 2 shown]
buffer_load_ubyte v61, v12, s[sgprSrdC:sgprSrdC+3], 0, offen offset:0,  sc0 sc1 // load C for beta calc
/* (d1,vc1,d0,vc0)=(0,3,1,0) */
buffer_load_ubyte v63, v12, s[sgprSrdC:sgprSrdC+3], 0, offen offset:32,  sc0 sc1 // load C for beta calc
/* (d1,vc1,d0,vc0)=(0,3,2,0) */
	;; [unrolled: 2-line block ×8, first 2 shown]
s_mul_i32 s34, s[sgprStrideC1J], 5                 // scale StrideC *= numRows(5) * bpe
s_add_u32  s[sgprSrdC+0], s[sgprSrdC+0], s34       // incToNextRow: gra SRD += inc(lower)
s_addc_u32  s[sgprSrdC+1], s[sgprSrdC+1], 0        // incToNextRow: gra SRD += inc(upper)
buffer_load_ubyte v77, v12, s[sgprSrdC:sgprSrdC+3], 0, offen offset:0,  sc0 sc1 // load C for beta calc
/* (d1,vc1,d0,vc0)=(1,0,1,0) */
buffer_load_ubyte v79, v12, s[sgprSrdC:sgprSrdC+3], 0, offen offset:32,  sc0 sc1 // load C for beta calc
/* (d1,vc1,d0,vc0)=(1,0,2,0) */
buffer_load_ubyte v81, v12, s[sgprSrdC:sgprSrdC+3], 0, offen offset:64,  sc0 sc1 // load C for beta calc
/* (d1,vc1,d0,vc0)=(1,0,3,0) */
buffer_load_ubyte v83, v12, s[sgprSrdC:sgprSrdC+3], 0, offen offset:96,  sc0 sc1 // load C for beta calc
/* (d1,vc1,d0,vc0)=(1,0,4,0) */
buffer_load_ubyte v85, v12, s[sgprSrdC:sgprSrdC+3], 0, offen offset:128,  sc0 sc1 // load C for beta calc
/* (d1,vc1,d0,vc0)=(1,0,5,0) */
buffer_load_ubyte v87, v12, s[sgprSrdC:sgprSrdC+3], 0, offen offset:160,  sc0 sc1 // load C for beta calc
/* (d1,vc1,d0,vc0)=(1,0,6,0) */
buffer_load_ubyte v89, v12, s[sgprSrdC:sgprSrdC+3], 0, offen offset:192,  sc0 sc1 // load C for beta calc
/* (d1,vc1,d0,vc0)=(1,0,7,0) */
buffer_load_ubyte v91, v12, s[sgprSrdC:sgprSrdC+3], 0, offen offset:224,  sc0 sc1 // load C for beta calc
/* (d1,vc1,d0,vc0)=(1,1,0,0) */
s_lshl_b32  s34, s[sgprStrideC1J], 0               // incToNextRow: Scale by BPE
s_add_u32  s[sgprSrdC+0], s[sgprSrdC+0], s34       // incToNextRow: gra SRD += inc(lower)
s_addc_u32  s[sgprSrdC+1], s[sgprSrdC+1], 0        // incToNextRow: gra SRD += inc(upper)
buffer_load_ubyte v93, v12, s[sgprSrdC:sgprSrdC+3], 0, offen offset:0,  sc0 sc1 // load C for beta calc
/* (d1,vc1,d0,vc0)=(1,1,1,0) */
buffer_load_ubyte v95, v12, s[sgprSrdC:sgprSrdC+3], 0, offen offset:32,  sc0 sc1 // load C for beta calc
/* (d1,vc1,d0,vc0)=(1,1,2,0) */
buffer_load_ubyte v97, v12, s[sgprSrdC:sgprSrdC+3], 0, offen offset:64,  sc0 sc1 // load C for beta calc
/* (d1,vc1,d0,vc0)=(1,1,3,0) */
buffer_load_ubyte v99, v12, s[sgprSrdC:sgprSrdC+3], 0, offen offset:96,  sc0 sc1 // load C for beta calc
/* (d1,vc1,d0,vc0)=(1,1,4,0) */
buffer_load_ubyte v101, v12, s[sgprSrdC:sgprSrdC+3], 0, offen offset:128,  sc0 sc1 // load C for beta calc
/* (d1,vc1,d0,vc0)=(1,1,5,0) */
buffer_load_ubyte v103, v12, s[sgprSrdC:sgprSrdC+3], 0, offen offset:160,  sc0 sc1 // load C for beta calc
/* (d1,vc1,d0,vc0)=(1,1,6,0) */
buffer_load_ubyte v105, v12, s[sgprSrdC:sgprSrdC+3], 0, offen offset:192,  sc0 sc1 // load C for beta calc
/* (d1,vc1,d0,vc0)=(1,1,7,0) */
buffer_load_ubyte v107, v12, s[sgprSrdC:sgprSrdC+3], 0, offen offset:224,  sc0 sc1 // load C for beta calc
/* (d1,vc1,d0,vc0)=(1,2,0,0) */
s_lshl_b32  s34, s[sgprStrideC1J], 0               // incToNextRow: Scale by BPE
	;; [unrolled: 19-line block ×3, first 2 shown]
s_add_u32  s[sgprSrdC+0], s[sgprSrdC+0], s34       // incToNextRow: gra SRD += inc(lower)
s_addc_u32  s[sgprSrdC+1], s[sgprSrdC+1], 0        // incToNextRow: gra SRD += inc(upper)
buffer_load_ubyte v128, v12, s[sgprSrdC:sgprSrdC+3], 0, offen offset:0,  sc0 sc1 // load C for beta calc
/* (d1,vc1,d0,vc0)=(1,3,1,0) */
buffer_load_ubyte v130, v12, s[sgprSrdC:sgprSrdC+3], 0, offen offset:32,  sc0 sc1 // load C for beta calc
/* (d1,vc1,d0,vc0)=(1,3,2,0) */
	;; [unrolled: 2-line block ×8, first 2 shown]
s_mul_i32 s34, s[sgprStrideC1J], 5                 // scale StrideC *= numRows(5) * bpe
s_add_u32  s[sgprSrdC+0], s[sgprSrdC+0], s34       // incToNextRow: gra SRD += inc(lower)
s_addc_u32  s[sgprSrdC+1], s[sgprSrdC+1], 0        // incToNextRow: gra SRD += inc(upper)
buffer_load_ubyte v144, v12, s[sgprSrdC:sgprSrdC+3], 0, offen offset:0,  sc0 sc1 // load C for beta calc
/* (d1,vc1,d0,vc0)=(2,0,1,0) */
buffer_load_ubyte v146, v12, s[sgprSrdC:sgprSrdC+3], 0, offen offset:32,  sc0 sc1 // load C for beta calc
/* (d1,vc1,d0,vc0)=(2,0,2,0) */
buffer_load_ubyte v148, v12, s[sgprSrdC:sgprSrdC+3], 0, offen offset:64,  sc0 sc1 // load C for beta calc
/* (d1,vc1,d0,vc0)=(2,0,3,0) */
buffer_load_ubyte v150, v12, s[sgprSrdC:sgprSrdC+3], 0, offen offset:96,  sc0 sc1 // load C for beta calc
/* (d1,vc1,d0,vc0)=(2,0,4,0) */
buffer_load_ubyte v152, v12, s[sgprSrdC:sgprSrdC+3], 0, offen offset:128,  sc0 sc1 // load C for beta calc
/* (d1,vc1,d0,vc0)=(2,0,5,0) */
buffer_load_ubyte v154, v12, s[sgprSrdC:sgprSrdC+3], 0, offen offset:160,  sc0 sc1 // load C for beta calc
/* (d1,vc1,d0,vc0)=(2,0,6,0) */
buffer_load_ubyte v156, v12, s[sgprSrdC:sgprSrdC+3], 0, offen offset:192,  sc0 sc1 // load C for beta calc
/* (d1,vc1,d0,vc0)=(2,0,7,0) */
buffer_load_ubyte v158, v12, s[sgprSrdC:sgprSrdC+3], 0, offen offset:224,  sc0 sc1 // load C for beta calc
/* (d1,vc1,d0,vc0)=(2,1,0,0) */
s_lshl_b32  s34, s[sgprStrideC1J], 0               // incToNextRow: Scale by BPE
s_add_u32  s[sgprSrdC+0], s[sgprSrdC+0], s34       // incToNextRow: gra SRD += inc(lower)
s_addc_u32  s[sgprSrdC+1], s[sgprSrdC+1], 0        // incToNextRow: gra SRD += inc(upper)
buffer_load_ubyte v160, v12, s[sgprSrdC:sgprSrdC+3], 0, offen offset:0,  sc0 sc1 // load C for beta calc
/* (d1,vc1,d0,vc0)=(2,1,1,0) */
buffer_load_ubyte v162, v12, s[sgprSrdC:sgprSrdC+3], 0, offen offset:32,  sc0 sc1 // load C for beta calc
/* (d1,vc1,d0,vc0)=(2,1,2,0) */
buffer_load_ubyte v164, v12, s[sgprSrdC:sgprSrdC+3], 0, offen offset:64,  sc0 sc1 // load C for beta calc
/* (d1,vc1,d0,vc0)=(2,1,3,0) */
buffer_load_ubyte v166, v12, s[sgprSrdC:sgprSrdC+3], 0, offen offset:96,  sc0 sc1 // load C for beta calc
/* (d1,vc1,d0,vc0)=(2,1,4,0) */
buffer_load_ubyte v168, v12, s[sgprSrdC:sgprSrdC+3], 0, offen offset:128,  sc0 sc1 // load C for beta calc
/* (d1,vc1,d0,vc0)=(2,1,5,0) */
buffer_load_ubyte v170, v12, s[sgprSrdC:sgprSrdC+3], 0, offen offset:160,  sc0 sc1 // load C for beta calc
/* (d1,vc1,d0,vc0)=(2,1,6,0) */
buffer_load_ubyte v172, v12, s[sgprSrdC:sgprSrdC+3], 0, offen offset:192,  sc0 sc1 // load C for beta calc
/* (d1,vc1,d0,vc0)=(2,1,7,0) */
buffer_load_ubyte v174, v12, s[sgprSrdC:sgprSrdC+3], 0, offen offset:224,  sc0 sc1 // load C for beta calc
/* (d1,vc1,d0,vc0)=(2,2,0,0) */
s_lshl_b32  s34, s[sgprStrideC1J], 0               // incToNextRow: Scale by BPE
	;; [unrolled: 19-line block ×3, first 2 shown]
s_add_u32  s[sgprSrdC+0], s[sgprSrdC+0], s34       // incToNextRow: gra SRD += inc(lower)
s_addc_u32  s[sgprSrdC+1], s[sgprSrdC+1], 0        // incToNextRow: gra SRD += inc(upper)
buffer_load_ubyte v192, v12, s[sgprSrdC:sgprSrdC+3], 0, offen offset:0,  sc0 sc1 // load C for beta calc
/* (d1,vc1,d0,vc0)=(2,3,1,0) */
buffer_load_ubyte v194, v12, s[sgprSrdC:sgprSrdC+3], 0, offen offset:32,  sc0 sc1 // load C for beta calc
/* (d1,vc1,d0,vc0)=(2,3,2,0) */
	;; [unrolled: 2-line block ×8, first 2 shown]
s_mul_i32 s34, s[sgprStrideC1J], 5                 // scale StrideC *= numRows(5) * bpe
s_add_u32  s[sgprSrdC+0], s[sgprSrdC+0], s34       // incToNextRow: gra SRD += inc(lower)
s_addc_u32  s[sgprSrdC+1], s[sgprSrdC+1], 0        // incToNextRow: gra SRD += inc(upper)
buffer_load_ubyte v208, v12, s[sgprSrdC:sgprSrdC+3], 0, offen offset:0,  sc0 sc1 // load C for beta calc
/* (d1,vc1,d0,vc0)=(3,0,1,0) */
buffer_load_ubyte v210, v12, s[sgprSrdC:sgprSrdC+3], 0, offen offset:32,  sc0 sc1 // load C for beta calc
/* (d1,vc1,d0,vc0)=(3,0,2,0) */
	;; [unrolled: 2-line block ×8, first 2 shown]
s_lshl_b32  s34, s[sgprStrideC1J], 0               // incToNextRow: Scale by BPE
s_add_u32  s[sgprSrdC+0], s[sgprSrdC+0], s34       // incToNextRow: gra SRD += inc(lower)
s_addc_u32  s[sgprSrdC+1], s[sgprSrdC+1], 0        // incToNextRow: gra SRD += inc(upper)
buffer_load_ubyte v224, v12, s[sgprSrdC:sgprSrdC+3], 0, offen offset:0,  sc0 sc1 // load C for beta calc
/* (d1,vc1,d0,vc0)=(3,1,1,0) */
buffer_load_ubyte v226, v12, s[sgprSrdC:sgprSrdC+3], 0, offen offset:32,  sc0 sc1 // load C for beta calc
/* (d1,vc1,d0,vc0)=(3,1,2,0) */
buffer_load_ubyte v228, v12, s[sgprSrdC:sgprSrdC+3], 0, offen offset:64,  sc0 sc1 // load C for beta calc
/* (d1,vc1,d0,vc0)=(3,1,3,0) */
buffer_load_ubyte v230, v12, s[sgprSrdC:sgprSrdC+3], 0, offen offset:96,  sc0 sc1 // load C for beta calc
/* (d1,vc1,d0,vc0)=(3,1,4,0) */
buffer_load_ubyte v232, v12, s[sgprSrdC:sgprSrdC+3], 0, offen offset:128,  sc0 sc1 // load C for beta calc
/* (d1,vc1,d0,vc0)=(3,1,5,0) */
buffer_load_ubyte v234, v12, s[sgprSrdC:sgprSrdC+3], 0, offen offset:160,  sc0 sc1 // load C for beta calc
/* (d1,vc1,d0,vc0)=(3,1,6,0) */
buffer_load_ubyte v236, v12, s[sgprSrdC:sgprSrdC+3], 0, offen offset:192,  sc0 sc1 // load C for beta calc
/* (d1,vc1,d0,vc0)=(3,1,7,0) */
buffer_load_ubyte v238, v12, s[sgprSrdC:sgprSrdC+3], 0, offen offset:224,  sc0 sc1 // load C for beta calc
/* (d1,vc1,d0,vc0)=(3,2,0,0) */
s_lshl_b32  s34, s[sgprStrideC1J], 0               // incToNextRow: Scale by BPE
s_add_u32  s[sgprSrdC+0], s[sgprSrdC+0], s34       // incToNextRow: gra SRD += inc(lower)
s_addc_u32  s[sgprSrdC+1], s[sgprSrdC+1], 0        // incToNextRow: gra SRD += inc(upper)
buffer_load_ubyte v240, v12, s[sgprSrdC:sgprSrdC+3], 0, offen offset:0,  sc0 sc1 // load C for beta calc
/* (d1,vc1,d0,vc0)=(3,2,1,0) */
buffer_load_ubyte v242, v12, s[sgprSrdC:sgprSrdC+3], 0, offen offset:32,  sc0 sc1 // load C for beta calc
/* (d1,vc1,d0,vc0)=(3,2,2,0) */
	;; [unrolled: 2-line block ×6, first 2 shown]
buffer_load_ubyte v252, v12, s[sgprSrdC:sgprSrdC+3], 0, offen offset:192,  sc0 sc1 // load C for beta calc
_v_add_lshl_u32 v11, v3, v0, 0x0                   // optSingleColVgpr scaleToBpe: sharedAddrVgpr <- cinRowPtr + coord0, scaled by BPE. BSHERE:coord0=0, coord0Vgpr=0
s_sleep 3 // optimization: sync and wait
s_barrier
v_accvgpr_read_b32 v[vgprValuC+14], acc0 // copy acc to vreg[0]
v_accvgpr_read_b32 v[vgprValuC+16], acc16 // copy acc to vreg[1]
v_accvgpr_read_b32 v[vgprValuC+18], acc32 // copy acc to vreg[2]
v_accvgpr_read_b32 v[vgprValuC+20], acc48 // copy acc to vreg[3]
v_accvgpr_read_b32 v[vgprValuC+22], acc64 // copy acc to vreg[4]
v_accvgpr_read_b32 v[vgprValuC+24], acc80 // copy acc to vreg[5]
v_accvgpr_read_b32 v[vgprValuC+26], acc96 // copy acc to vreg[6]
v_accvgpr_read_b32 v[vgprValuC+28], acc112 // copy acc to vreg[7]
v_accvgpr_read_b32 v[vgprValuC+30], acc1 // copy acc to vreg[8]
v_accvgpr_read_b32 v[vgprValuC+32], acc17 // copy acc to vreg[9]
v_accvgpr_read_b32 v[vgprValuC+34], acc33 // copy acc to vreg[10]
v_accvgpr_read_b32 v[vgprValuC+36], acc49 // copy acc to vreg[11]
v_accvgpr_read_b32 v[vgprValuC+38], acc65 // copy acc to vreg[12]
v_accvgpr_read_b32 v[vgprValuC+40], acc81 // copy acc to vreg[13]
v_accvgpr_read_b32 v[vgprValuC+42], acc97 // copy acc to vreg[14]
v_accvgpr_read_b32 v[vgprValuC+44], acc113 // copy acc to vreg[15]
v_accvgpr_read_b32 v[vgprValuC+46], acc2 // copy acc to vreg[16]
v_accvgpr_read_b32 v[vgprValuC+48], acc18 // copy acc to vreg[17]
v_accvgpr_read_b32 v[vgprValuC+50], acc34 // copy acc to vreg[18]
v_accvgpr_read_b32 v[vgprValuC+52], acc50 // copy acc to vreg[19]
v_accvgpr_read_b32 v[vgprValuC+54], acc66 // copy acc to vreg[20]
v_accvgpr_read_b32 v[vgprValuC+56], acc82 // copy acc to vreg[21]
v_accvgpr_read_b32 v[vgprValuC+58], acc98 // copy acc to vreg[22]
v_accvgpr_read_b32 v[vgprValuC+60], acc114 // copy acc to vreg[23]
v_accvgpr_read_b32 v[vgprValuC+62], acc3 // copy acc to vreg[24]
v_accvgpr_read_b32 v[vgprValuC+64], acc19 // copy acc to vreg[25]
v_accvgpr_read_b32 v[vgprValuC+66], acc35 // copy acc to vreg[26]
v_accvgpr_read_b32 v[vgprValuC+68], acc51 // copy acc to vreg[27]
v_accvgpr_read_b32 v[vgprValuC+70], acc67 // copy acc to vreg[28]
v_accvgpr_read_b32 v[vgprValuC+72], acc83 // copy acc to vreg[29]
v_accvgpr_read_b32 v[vgprValuC+74], acc99 // copy acc to vreg[30]
v_accvgpr_read_b32 v[vgprValuC+76], acc115 // copy acc to vreg[31]
v_accvgpr_read_b32 v[vgprValuC+78], acc4 // copy acc to vreg[32]
v_accvgpr_read_b32 v[vgprValuC+80], acc20 // copy acc to vreg[33]
v_accvgpr_read_b32 v[vgprValuC+82], acc36 // copy acc to vreg[34]
v_accvgpr_read_b32 v[vgprValuC+84], acc52 // copy acc to vreg[35]
v_accvgpr_read_b32 v[vgprValuC+86], acc68 // copy acc to vreg[36]
v_accvgpr_read_b32 v[vgprValuC+88], acc84 // copy acc to vreg[37]
v_accvgpr_read_b32 v[vgprValuC+90], acc100 // copy acc to vreg[38]
v_accvgpr_read_b32 v[vgprValuC+92], acc116 // copy acc to vreg[39]
v_accvgpr_read_b32 v[vgprValuC+94], acc5 // copy acc to vreg[40]
v_accvgpr_read_b32 v[vgprValuC+96], acc21 // copy acc to vreg[41]
v_accvgpr_read_b32 v[vgprValuC+98], acc37 // copy acc to vreg[42]
v_accvgpr_read_b32 v[vgprValuC+100], acc53 // copy acc to vreg[43]
v_accvgpr_read_b32 v[vgprValuC+102], acc69 // copy acc to vreg[44]
v_accvgpr_read_b32 v[vgprValuC+104], acc85 // copy acc to vreg[45]
v_accvgpr_read_b32 v[vgprValuC+106], acc101 // copy acc to vreg[46]
v_accvgpr_read_b32 v[vgprValuC+108], acc117 // copy acc to vreg[47]
v_accvgpr_read_b32 v[vgprValuC+110], acc6 // copy acc to vreg[48]
v_accvgpr_read_b32 v[vgprValuC+112], acc22 // copy acc to vreg[49]
v_accvgpr_read_b32 v[vgprValuC+114], acc38 // copy acc to vreg[50]
v_accvgpr_read_b32 v[vgprValuC+119], acc54 // copy acc to vreg[51]
v_accvgpr_read_b32 v[vgprValuC+121], acc70 // copy acc to vreg[52]
v_accvgpr_read_b32 v[vgprValuC+123], acc86 // copy acc to vreg[53]
v_accvgpr_read_b32 v[vgprValuC+125], acc102 // copy acc to vreg[54]
v_accvgpr_read_b32 v[vgprValuC+127], acc118 // copy acc to vreg[55]
v_accvgpr_read_b32 v[vgprValuC+129], acc7 // copy acc to vreg[56]
v_accvgpr_read_b32 v[vgprValuC+131], acc23 // copy acc to vreg[57]
v_accvgpr_read_b32 v[vgprValuC+133], acc39 // copy acc to vreg[58]
v_accvgpr_read_b32 v[vgprValuC+135], acc55 // copy acc to vreg[59]
v_accvgpr_read_b32 v[vgprValuC+137], acc71 // copy acc to vreg[60]
v_accvgpr_read_b32 v[vgprValuC+139], acc87 // copy acc to vreg[61]
v_accvgpr_read_b32 v[vgprValuC+141], acc103 // copy acc to vreg[62]
v_accvgpr_read_b32 v[vgprValuC+143], acc119 // copy acc to vreg[63]
v_accvgpr_read_b32 v[vgprValuC+145], acc8 // copy acc to vreg[64]
v_accvgpr_read_b32 v[vgprValuC+147], acc24 // copy acc to vreg[65]
v_accvgpr_read_b32 v[vgprValuC+149], acc40 // copy acc to vreg[66]
v_accvgpr_read_b32 v[vgprValuC+151], acc56 // copy acc to vreg[67]
v_accvgpr_read_b32 v[vgprValuC+153], acc72 // copy acc to vreg[68]
v_accvgpr_read_b32 v[vgprValuC+155], acc88 // copy acc to vreg[69]
v_accvgpr_read_b32 v[vgprValuC+157], acc104 // copy acc to vreg[70]
v_accvgpr_read_b32 v[vgprValuC+159], acc120 // copy acc to vreg[71]
v_accvgpr_read_b32 v[vgprValuC+161], acc9 // copy acc to vreg[72]
v_accvgpr_read_b32 v[vgprValuC+163], acc25 // copy acc to vreg[73]
v_accvgpr_read_b32 v[vgprValuC+165], acc41 // copy acc to vreg[74]
v_accvgpr_read_b32 v[vgprValuC+167], acc57 // copy acc to vreg[75]
v_accvgpr_read_b32 v[vgprValuC+169], acc73 // copy acc to vreg[76]
v_accvgpr_read_b32 v[vgprValuC+171], acc89 // copy acc to vreg[77]
v_accvgpr_read_b32 v[vgprValuC+173], acc105 // copy acc to vreg[78]
v_accvgpr_read_b32 v[vgprValuC+175], acc121 // copy acc to vreg[79]
v_accvgpr_read_b32 v[vgprValuC+177], acc10 // copy acc to vreg[80]
v_accvgpr_read_b32 v[vgprValuC+179], acc26 // copy acc to vreg[81]
v_accvgpr_read_b32 v[vgprValuC+181], acc42 // copy acc to vreg[82]
v_accvgpr_read_b32 v[vgprValuC+183], acc58 // copy acc to vreg[83]
v_accvgpr_read_b32 v[vgprValuC+185], acc74 // copy acc to vreg[84]
v_accvgpr_read_b32 v[vgprValuC+187], acc90 // copy acc to vreg[85]
v_accvgpr_read_b32 v[vgprValuC+189], acc106 // copy acc to vreg[86]
v_accvgpr_read_b32 v[vgprValuC+191], acc122 // copy acc to vreg[87]
v_accvgpr_read_b32 v[vgprValuC+193], acc11 // copy acc to vreg[88]
v_accvgpr_read_b32 v[vgprValuC+195], acc27 // copy acc to vreg[89]
v_accvgpr_read_b32 v[vgprValuC+197], acc43 // copy acc to vreg[90]
v_accvgpr_read_b32 v[vgprValuC+199], acc59 // copy acc to vreg[91]
v_accvgpr_read_b32 v[vgprValuC+201], acc75 // copy acc to vreg[92]
v_accvgpr_read_b32 v[vgprValuC+203], acc91 // copy acc to vreg[93]
v_accvgpr_read_b32 v[vgprValuC+205], acc107 // copy acc to vreg[94]
v_accvgpr_read_b32 v[vgprValuC+207], acc123 // copy acc to vreg[95]
v_accvgpr_read_b32 v[vgprValuC+209], acc12 // copy acc to vreg[96]
v_accvgpr_read_b32 v[vgprValuC+211], acc28 // copy acc to vreg[97]
v_accvgpr_read_b32 v[vgprValuC+213], acc44 // copy acc to vreg[98]
v_accvgpr_read_b32 v[vgprValuC+215], acc60 // copy acc to vreg[99]
v_accvgpr_read_b32 v[vgprValuC+217], acc76 // copy acc to vreg[100]
v_accvgpr_read_b32 v[vgprValuC+219], acc92 // copy acc to vreg[101]
v_accvgpr_read_b32 v[vgprValuC+221], acc108 // copy acc to vreg[102]
v_accvgpr_read_b32 v[vgprValuC+223], acc124 // copy acc to vreg[103]
v_accvgpr_read_b32 v[vgprValuC+225], acc13 // copy acc to vreg[104]
v_accvgpr_read_b32 v[vgprValuC+227], acc29 // copy acc to vreg[105]
v_accvgpr_read_b32 v[vgprValuC+229], acc45 // copy acc to vreg[106]
v_accvgpr_read_b32 v[vgprValuC+231], acc61 // copy acc to vreg[107]
v_accvgpr_read_b32 v[vgprValuC+233], acc77 // copy acc to vreg[108]
v_accvgpr_read_b32 v[vgprValuC+235], acc93 // copy acc to vreg[109]
v_accvgpr_read_b32 v[vgprValuC+237], acc109 // copy acc to vreg[110]
v_accvgpr_read_b32 v[vgprValuC+239], acc125 // copy acc to vreg[111]
v_accvgpr_read_b32 v[vgprValuC+241], acc14 // copy acc to vreg[112]
v_accvgpr_read_b32 v[vgprValuC+243], acc30 // copy acc to vreg[113]
v_accvgpr_read_b32 v[vgprValuC+245], acc46 // copy acc to vreg[114]
v_accvgpr_read_b32 v[vgprValuC+247], acc62 // copy acc to vreg[115]
v_accvgpr_read_b32 v[vgprValuC+249], acc78 // copy acc to vreg[116]
v_accvgpr_read_b32 v[vgprValuC+251], acc94 // copy acc to vreg[117]
v_accvgpr_read_b32 v[vgprValuC+253], acc110 // copy acc to vreg[118]
s_nop 1                                            // 2 wait states required before reading vgpr

/* rC *= alpha batchElements=[(0, 0, 0, 0), (0, 1, 0, 0), (0, 2, 0, 0), (0, 3, 0, 0), (0, 4, 0, 0), (0, 5, 0, 0), (0, 6, 0, 0), (0, 7, 0, 0), (0, 0, 1, 0), (0, 1, 1, 0), (0, 2, 1, 0), (0, 3, 1, 0), (0, 4, 1, 0), (0, 5, 1, 0), (0, 6, 1, 0), (0, 7, 1, 0), (0, 0, 2, 0), (0, 1, 2, 0), (0, 2, 2, 0), (0, 3, 2, 0), (0, 4, 2, 0), (0, 5, 2, 0), (0, 6, 2, 0), (0, 7, 2, 0), (0, 0, 3, 0), (0, 1, 3, 0), (0, 2, 3, 0), (0, 3, 3, 0), (0, 4, 3, 0), (0, 5, 3, 0), (0, 6, 3, 0), (0, 7, 3, 0), (1, 0, 0, 0), (1, 1, 0, 0), (1, 2, 0, 0), (1, 3, 0, 0), (1, 4, 0, 0), (1, 5, 0, 0), (1, 6, 0, 0), (1, 7, 0, 0), (1, 0, 1, 0), (1, 1, 1, 0), (1, 2, 1, 0), (1, 3, 1, 0), (1, 4, 1, 0), (1, 5, 1, 0), (1, 6, 1, 0), (1, 7, 1, 0), (1, 0, 2, 0), (1, 1, 2, 0), (1, 2, 2, 0), (1, 3, 2, 0), (1, 4, 2, 0), (1, 5, 2, 0), (1, 6, 2, 0), (1, 7, 2, 0), (1, 0, 3, 0), (1, 1, 3, 0), (1, 2, 3, 0), (1, 3, 3, 0), (1, 4, 3, 0), (1, 5, 3, 0), (1, 6, 3, 0), (1, 7, 3, 0), (2, 0, 0, 0), (2, 1, 0, 0), (2, 2, 0, 0), (2, 3, 0, 0), (2, 4, 0, 0), (2, 5, 0, 0), (2, 6, 0, 0), (2, 7, 0, 0), (2, 0, 1, 0), (2, 1, 1, 0), (2, 2, 1, 0), (2, 3, 1, 0), (2, 4, 1, 0), (2, 5, 1, 0), (2, 6, 1, 0), (2, 7, 1, 0), (2, 0, 2, 0), (2, 1, 2, 0), (2, 2, 2, 0), (2, 3, 2, 0), (2, 4, 2, 0), (2, 5, 2, 0), (2, 6, 2, 0), (2, 7, 2, 0), (2, 0, 3, 0), (2, 1, 3, 0), (2, 2, 3, 0), (2, 3, 3, 0), (2, 4, 3, 0), (2, 5, 3, 0), (2, 6, 3, 0), (2, 7, 3, 0), (3, 0, 0, 0), (3, 1, 0, 0), (3, 2, 0, 0), (3, 3, 0, 0), (3, 4, 0, 0), (3, 5, 0, 0), (3, 6, 0, 0), (3, 7, 0, 0), (3, 0, 1, 0), (3, 1, 1, 0), (3, 2, 1, 0), (3, 3, 1, 0), (3, 4, 1, 0), (3, 5, 1, 0), (3, 6, 1, 0), (3, 7, 1, 0), (3, 0, 2, 0), (3, 1, 2, 0), (3, 2, 2, 0), (3, 3, 2, 0), (3, 4, 2, 0), (3, 5, 2, 0), (3, 6, 2, 0)] */
v_mul_f32 v[vgprValuC+14], s[sgprAlpha], v[vgprValuC+14] // *= alpha
v_mul_f32 v[vgprValuC+16], s[sgprAlpha], v[vgprValuC+16] // *= alpha
	;; [unrolled: 1-line block ×119, first 2 shown]

/* apply mask, calc new C and issue writes */
v_mov_b32 v10, 0x207                               // flag for Nan and +/- inf
v_mov_b32 v8, 0x47600000                           // save 57344.0f as max for clipping
v_mov_b32 v9, 0xC7600000                           // save -57344`.0f as min for clipping

s_waitcnt vmcnt(63)                                // wait C (interleaved) 118 = 119 - 0 + 0 - 1
v_cvt_f32_bf8 v6, v13 src0_sel:BYTE_0   // convert bf8 in lo_byte[0] to f32
_v_mac_f32 v[vgprValuC+14], v6, s[sgprBeta]        // finalSum = sum*alpha + C*beta
v_cmp_class_f32 s[34:35], v[vgprValuC+14], v10     // check NaN and +/-INF
v_med3_f32 v6, v[vgprValuC+14], v8, v9             // Clipping f32 value if exceeds the limit
v_cndmask_b32 v6, v6, v[vgprValuC+14], s[34:35]    // 
v_cvt_pk_bf8_f32  v14, v6, v6                      // convert f32 accumulated values to fp8
buffer_store_byte v14, v11, s[sgprSrdD:sgprSrdD+3], 0, offen, offset:0,  sc0 sc1 // store D

s_waitcnt vmcnt(63)                                // wait C (interleaved) 118 = 119 - 1 + 1 - 1
v_cvt_f32_bf8 v6, v15 src0_sel:BYTE_0   // convert bf8 in lo_byte[0] to f32
_v_mac_f32 v[vgprValuC+16], v6, s[sgprBeta]        // finalSum = sum*alpha + C*beta
v_cmp_class_f32 s[34:35], v[vgprValuC+16], v10     // check NaN and +/-INF
v_med3_f32 v6, v[vgprValuC+16], v8, v9             // Clipping f32 value if exceeds the limit
v_cndmask_b32 v6, v6, v[vgprValuC+16], s[34:35]    // 
v_cvt_pk_bf8_f32  v16, v6, v6                      // convert f32 accumulated values to fp8
buffer_store_byte v16, v11, s[sgprSrdD:sgprSrdD+3], 0, offen, offset:32,  sc0 sc1 // store D
	;; [unrolled: 9-line block ×8, first 2 shown]

s_waitcnt vmcnt(63)                                // wait C (interleaved) 118 = 119 - 8 + 8 - 1
v_cvt_f32_bf8 v6, v29 src0_sel:BYTE_0   // convert bf8 in lo_byte[0] to f32
_v_mac_f32 v[vgprValuC+30], v6, s[sgprBeta]        // finalSum = sum*alpha + C*beta
v_cmp_class_f32 s[34:35], v[vgprValuC+30], v10     // check NaN and +/-INF
v_med3_f32 v6, v[vgprValuC+30], v8, v9             // Clipping f32 value if exceeds the limit
v_cndmask_b32 v6, v6, v[vgprValuC+30], s[34:35]    // 
v_cvt_pk_bf8_f32  v30, v6, v6                      // convert f32 accumulated values to fp8
s_lshl_b32  s34, s[sgprStrideD1J], 0               // incToNextRow: Scale by BPE
s_add_u32  s[sgprSrdD+0], s[sgprSrdD+0], s34       // incToNextRow: gra SRD += inc(lower)
s_addc_u32  s[sgprSrdD+1], s[sgprSrdD+1], 0        // incToNextRow: gra SRD += inc(upper)
buffer_store_byte v30, v11, s[sgprSrdD:sgprSrdD+3], 0, offen, offset:0,  sc0 sc1 // store D

s_waitcnt vmcnt(63)                                // wait C (interleaved) 118 = 119 - 9 + 9 - 1
v_cvt_f32_bf8 v6, v31 src0_sel:BYTE_0   // convert bf8 in lo_byte[0] to f32
_v_mac_f32 v[vgprValuC+32], v6, s[sgprBeta]        // finalSum = sum*alpha + C*beta
v_cmp_class_f32 s[34:35], v[vgprValuC+32], v10     // check NaN and +/-INF
v_med3_f32 v6, v[vgprValuC+32], v8, v9             // Clipping f32 value if exceeds the limit
v_cndmask_b32 v6, v6, v[vgprValuC+32], s[34:35]    // 
v_cvt_pk_bf8_f32  v32, v6, v6                      // convert f32 accumulated values to fp8
buffer_store_byte v32, v11, s[sgprSrdD:sgprSrdD+3], 0, offen, offset:32,  sc0 sc1 // store D

s_waitcnt vmcnt(63)                                // wait C (interleaved) 118 = 119 - 10 + 10 - 1
v_cvt_f32_bf8 v6, v33 src0_sel:BYTE_0   // convert bf8 in lo_byte[0] to f32
_v_mac_f32 v[vgprValuC+34], v6, s[sgprBeta]        // finalSum = sum*alpha + C*beta
v_cmp_class_f32 s[34:35], v[vgprValuC+34], v10     // check NaN and +/-INF
v_med3_f32 v6, v[vgprValuC+34], v8, v9             // Clipping f32 value if exceeds the limit
v_cndmask_b32 v6, v6, v[vgprValuC+34], s[34:35]    // 
v_cvt_pk_bf8_f32  v34, v6, v6                      // convert f32 accumulated values to fp8
	;; [unrolled: 9-line block ×8, first 2 shown]
s_lshl_b32  s34, s[sgprStrideD1J], 0               // incToNextRow: Scale by BPE
s_add_u32  s[sgprSrdD+0], s[sgprSrdD+0], s34       // incToNextRow: gra SRD += inc(lower)
s_addc_u32  s[sgprSrdD+1], s[sgprSrdD+1], 0        // incToNextRow: gra SRD += inc(upper)
buffer_store_byte v46, v11, s[sgprSrdD:sgprSrdD+3], 0, offen, offset:0,  sc0 sc1 // store D

s_waitcnt vmcnt(63)                                // wait C (interleaved) 118 = 119 - 17 + 17 - 1
v_cvt_f32_bf8 v6, v47 src0_sel:BYTE_0   // convert bf8 in lo_byte[0] to f32
_v_mac_f32 v[vgprValuC+48], v6, s[sgprBeta]        // finalSum = sum*alpha + C*beta
v_cmp_class_f32 s[34:35], v[vgprValuC+48], v10     // check NaN and +/-INF
v_med3_f32 v6, v[vgprValuC+48], v8, v9             // Clipping f32 value if exceeds the limit
v_cndmask_b32 v6, v6, v[vgprValuC+48], s[34:35]    // 
v_cvt_pk_bf8_f32  v48, v6, v6                      // convert f32 accumulated values to fp8
buffer_store_byte v48, v11, s[sgprSrdD:sgprSrdD+3], 0, offen, offset:32,  sc0 sc1 // store D

s_waitcnt vmcnt(63)                                // wait C (interleaved) 118 = 119 - 18 + 18 - 1
v_cvt_f32_bf8 v6, v49 src0_sel:BYTE_0   // convert bf8 in lo_byte[0] to f32
_v_mac_f32 v[vgprValuC+50], v6, s[sgprBeta]        // finalSum = sum*alpha + C*beta
v_cmp_class_f32 s[34:35], v[vgprValuC+50], v10     // check NaN and +/-INF
v_med3_f32 v6, v[vgprValuC+50], v8, v9             // Clipping f32 value if exceeds the limit
v_cndmask_b32 v6, v6, v[vgprValuC+50], s[34:35]    // 
v_cvt_pk_bf8_f32  v50, v6, v6                      // convert f32 accumulated values to fp8
	;; [unrolled: 9-line block ×8, first 2 shown]
s_lshl_b32  s34, s[sgprStrideD1J], 0               // incToNextRow: Scale by BPE
s_add_u32  s[sgprSrdD+0], s[sgprSrdD+0], s34       // incToNextRow: gra SRD += inc(lower)
s_addc_u32  s[sgprSrdD+1], s[sgprSrdD+1], 0        // incToNextRow: gra SRD += inc(upper)
buffer_store_byte v62, v11, s[sgprSrdD:sgprSrdD+3], 0, offen, offset:0,  sc0 sc1 // store D

s_waitcnt vmcnt(63)                                // wait C (interleaved) 118 = 119 - 25 + 25 - 1
v_cvt_f32_bf8 v6, v63 src0_sel:BYTE_0   // convert bf8 in lo_byte[0] to f32
_v_mac_f32 v[vgprValuC+64], v6, s[sgprBeta]        // finalSum = sum*alpha + C*beta
v_cmp_class_f32 s[34:35], v[vgprValuC+64], v10     // check NaN and +/-INF
v_med3_f32 v6, v[vgprValuC+64], v8, v9             // Clipping f32 value if exceeds the limit
v_cndmask_b32 v6, v6, v[vgprValuC+64], s[34:35]    // 
v_cvt_pk_bf8_f32  v64, v6, v6                      // convert f32 accumulated values to fp8
buffer_store_byte v64, v11, s[sgprSrdD:sgprSrdD+3], 0, offen, offset:32,  sc0 sc1 // store D

s_waitcnt vmcnt(63)                                // wait C (interleaved) 118 = 119 - 26 + 26 - 1
v_cvt_f32_bf8 v6, v65 src0_sel:BYTE_0   // convert bf8 in lo_byte[0] to f32
_v_mac_f32 v[vgprValuC+66], v6, s[sgprBeta]        // finalSum = sum*alpha + C*beta
v_cmp_class_f32 s[34:35], v[vgprValuC+66], v10     // check NaN and +/-INF
v_med3_f32 v6, v[vgprValuC+66], v8, v9             // Clipping f32 value if exceeds the limit
v_cndmask_b32 v6, v6, v[vgprValuC+66], s[34:35]    // 
v_cvt_pk_bf8_f32  v66, v6, v6                      // convert f32 accumulated values to fp8
	;; [unrolled: 9-line block ×8, first 2 shown]
s_mul_i32 s34, s[sgprStrideD1J], 5                 // scale StrideD *= numRows(5) * bpe
s_add_u32  s[sgprSrdD+0], s[sgprSrdD+0], s34       // incToNextRow: gra SRD += inc(lower)
s_addc_u32  s[sgprSrdD+1], s[sgprSrdD+1], 0        // incToNextRow: gra SRD += inc(upper)
buffer_store_byte v78, v11, s[sgprSrdD:sgprSrdD+3], 0, offen, offset:0,  sc0 sc1 // store D

s_waitcnt vmcnt(63)                                // wait C (interleaved) 118 = 119 - 33 + 33 - 1
v_cvt_f32_bf8 v6, v79 src0_sel:BYTE_0   // convert bf8 in lo_byte[0] to f32
_v_mac_f32 v[vgprValuC+80], v6, s[sgprBeta]        // finalSum = sum*alpha + C*beta
v_cmp_class_f32 s[34:35], v[vgprValuC+80], v10     // check NaN and +/-INF
v_med3_f32 v6, v[vgprValuC+80], v8, v9             // Clipping f32 value if exceeds the limit
v_cndmask_b32 v6, v6, v[vgprValuC+80], s[34:35]    // 
v_cvt_pk_bf8_f32  v80, v6, v6                      // convert f32 accumulated values to fp8
buffer_store_byte v80, v11, s[sgprSrdD:sgprSrdD+3], 0, offen, offset:32,  sc0 sc1 // store D

s_waitcnt vmcnt(63)                                // wait C (interleaved) 118 = 119 - 34 + 34 - 1
v_cvt_f32_bf8 v6, v81 src0_sel:BYTE_0   // convert bf8 in lo_byte[0] to f32
_v_mac_f32 v[vgprValuC+82], v6, s[sgprBeta]        // finalSum = sum*alpha + C*beta
v_cmp_class_f32 s[34:35], v[vgprValuC+82], v10     // check NaN and +/-INF
v_med3_f32 v6, v[vgprValuC+82], v8, v9             // Clipping f32 value if exceeds the limit
v_cndmask_b32 v6, v6, v[vgprValuC+82], s[34:35]    // 
v_cvt_pk_bf8_f32  v82, v6, v6                      // convert f32 accumulated values to fp8
	;; [unrolled: 9-line block ×8, first 2 shown]
s_lshl_b32  s34, s[sgprStrideD1J], 0               // incToNextRow: Scale by BPE
s_add_u32  s[sgprSrdD+0], s[sgprSrdD+0], s34       // incToNextRow: gra SRD += inc(lower)
s_addc_u32  s[sgprSrdD+1], s[sgprSrdD+1], 0        // incToNextRow: gra SRD += inc(upper)
buffer_store_byte v94, v11, s[sgprSrdD:sgprSrdD+3], 0, offen, offset:0,  sc0 sc1 // store D

s_waitcnt vmcnt(63)                                // wait C (interleaved) 118 = 119 - 41 + 41 - 1
v_cvt_f32_bf8 v6, v95 src0_sel:BYTE_0   // convert bf8 in lo_byte[0] to f32
_v_mac_f32 v[vgprValuC+96], v6, s[sgprBeta]        // finalSum = sum*alpha + C*beta
v_cmp_class_f32 s[34:35], v[vgprValuC+96], v10     // check NaN and +/-INF
v_med3_f32 v6, v[vgprValuC+96], v8, v9             // Clipping f32 value if exceeds the limit
v_cndmask_b32 v6, v6, v[vgprValuC+96], s[34:35]    // 
v_cvt_pk_bf8_f32  v96, v6, v6                      // convert f32 accumulated values to fp8
buffer_store_byte v96, v11, s[sgprSrdD:sgprSrdD+3], 0, offen, offset:32,  sc0 sc1 // store D

s_waitcnt vmcnt(63)                                // wait C (interleaved) 118 = 119 - 42 + 42 - 1
v_cvt_f32_bf8 v6, v97 src0_sel:BYTE_0   // convert bf8 in lo_byte[0] to f32
_v_mac_f32 v[vgprValuC+98], v6, s[sgprBeta]        // finalSum = sum*alpha + C*beta
v_cmp_class_f32 s[34:35], v[vgprValuC+98], v10     // check NaN and +/-INF
v_med3_f32 v6, v[vgprValuC+98], v8, v9             // Clipping f32 value if exceeds the limit
v_cndmask_b32 v6, v6, v[vgprValuC+98], s[34:35]    // 
v_cvt_pk_bf8_f32  v98, v6, v6                      // convert f32 accumulated values to fp8
buffer_store_byte v98, v11, s[sgprSrdD:sgprSrdD+3], 0, offen, offset:64,  sc0 sc1 // store D

s_waitcnt vmcnt(63)                                // wait C (interleaved) 118 = 119 - 43 + 43 - 1
v_cvt_f32_bf8 v6, v99 src0_sel:BYTE_0   // convert bf8 in lo_byte[0] to f32
_v_mac_f32 v[vgprValuC+100], v6, s[sgprBeta]       // finalSum = sum*alpha + C*beta
v_cmp_class_f32 s[34:35], v[vgprValuC+100], v10    // check NaN and +/-INF
v_med3_f32 v6, v[vgprValuC+100], v8, v9            // Clipping f32 value if exceeds the limit
v_cndmask_b32 v6, v6, v[vgprValuC+100], s[34:35]   // 
v_cvt_pk_bf8_f32  v100, v6, v6                     // convert f32 accumulated values to fp8
buffer_store_byte v100, v11, s[sgprSrdD:sgprSrdD+3], 0, offen, offset:96,  sc0 sc1 // store D

s_waitcnt vmcnt(63)                                // wait C (interleaved) 118 = 119 - 44 + 44 - 1
v_cvt_f32_bf8 v6, v101 src0_sel:BYTE_0   // convert bf8 in lo_byte[0] to f32
_v_mac_f32 v[vgprValuC+102], v6, s[sgprBeta]       // finalSum = sum*alpha + C*beta
v_cmp_class_f32 s[34:35], v[vgprValuC+102], v10    // check NaN and +/-INF
v_med3_f32 v6, v[vgprValuC+102], v8, v9            // Clipping f32 value if exceeds the limit
v_cndmask_b32 v6, v6, v[vgprValuC+102], s[34:35]   // 
v_cvt_pk_bf8_f32  v102, v6, v6                     // convert f32 accumulated values to fp8
	;; [unrolled: 9-line block ×6, first 2 shown]
s_lshl_b32  s34, s[sgprStrideD1J], 0               // incToNextRow: Scale by BPE
s_add_u32  s[sgprSrdD+0], s[sgprSrdD+0], s34       // incToNextRow: gra SRD += inc(lower)
s_addc_u32  s[sgprSrdD+1], s[sgprSrdD+1], 0        // incToNextRow: gra SRD += inc(upper)
buffer_store_byte v110, v11, s[sgprSrdD:sgprSrdD+3], 0, offen, offset:0,  sc0 sc1 // store D

s_waitcnt vmcnt(63)                                // wait C (interleaved) 118 = 119 - 49 + 49 - 1
v_cvt_f32_bf8 v6, v111 src0_sel:BYTE_0   // convert bf8 in lo_byte[0] to f32
_v_mac_f32 v[vgprValuC+112], v6, s[sgprBeta]       // finalSum = sum*alpha + C*beta
v_cmp_class_f32 s[34:35], v[vgprValuC+112], v10    // check NaN and +/-INF
v_med3_f32 v6, v[vgprValuC+112], v8, v9            // Clipping f32 value if exceeds the limit
v_cndmask_b32 v6, v6, v[vgprValuC+112], s[34:35]   // 
v_cvt_pk_bf8_f32  v112, v6, v6                     // convert f32 accumulated values to fp8
buffer_store_byte v112, v11, s[sgprSrdD:sgprSrdD+3], 0, offen, offset:32,  sc0 sc1 // store D

s_waitcnt vmcnt(63)                                // wait C (interleaved) 118 = 119 - 50 + 50 - 1
v_cvt_f32_bf8 v6, v113 src0_sel:BYTE_0   // convert bf8 in lo_byte[0] to f32
_v_mac_f32 v[vgprValuC+114], v6, s[sgprBeta]       // finalSum = sum*alpha + C*beta
v_cmp_class_f32 s[34:35], v[vgprValuC+114], v10    // check NaN and +/-INF
v_med3_f32 v6, v[vgprValuC+114], v8, v9            // Clipping f32 value if exceeds the limit
v_cndmask_b32 v6, v6, v[vgprValuC+114], s[34:35]   // 
v_cvt_pk_bf8_f32  v114, v6, v6                     // convert f32 accumulated values to fp8
	;; [unrolled: 9-line block ×8, first 2 shown]
s_lshl_b32  s34, s[sgprStrideD1J], 0               // incToNextRow: Scale by BPE
s_add_u32  s[sgprSrdD+0], s[sgprSrdD+0], s34       // incToNextRow: gra SRD += inc(lower)
s_addc_u32  s[sgprSrdD+1], s[sgprSrdD+1], 0        // incToNextRow: gra SRD += inc(upper)
buffer_store_byte v129, v11, s[sgprSrdD:sgprSrdD+3], 0, offen, offset:0,  sc0 sc1 // store D

s_waitcnt vmcnt(63)                                // wait C (interleaved) 118 = 119 - 57 + 57 - 1
v_cvt_f32_bf8 v6, v130 src0_sel:BYTE_0   // convert bf8 in lo_byte[0] to f32
_v_mac_f32 v[vgprValuC+131], v6, s[sgprBeta]       // finalSum = sum*alpha + C*beta
v_cmp_class_f32 s[34:35], v[vgprValuC+131], v10    // check NaN and +/-INF
v_med3_f32 v6, v[vgprValuC+131], v8, v9            // Clipping f32 value if exceeds the limit
v_cndmask_b32 v6, v6, v[vgprValuC+131], s[34:35]   // 
v_cvt_pk_bf8_f32  v131, v6, v6                     // convert f32 accumulated values to fp8
buffer_store_byte v131, v11, s[sgprSrdD:sgprSrdD+3], 0, offen, offset:32,  sc0 sc1 // store D

s_waitcnt vmcnt(63)                                // wait C (interleaved) 118 = 119 - 58 + 58 - 1
v_cvt_f32_bf8 v6, v132 src0_sel:BYTE_0   // convert bf8 in lo_byte[0] to f32
_v_mac_f32 v[vgprValuC+133], v6, s[sgprBeta]       // finalSum = sum*alpha + C*beta
v_cmp_class_f32 s[34:35], v[vgprValuC+133], v10    // check NaN and +/-INF
v_med3_f32 v6, v[vgprValuC+133], v8, v9            // Clipping f32 value if exceeds the limit
v_cndmask_b32 v6, v6, v[vgprValuC+133], s[34:35]   // 
v_cvt_pk_bf8_f32  v133, v6, v6                     // convert f32 accumulated values to fp8
buffer_store_byte v133, v11, s[sgprSrdD:sgprSrdD+3], 0, offen, offset:64,  sc0 sc1 // store D

s_waitcnt vmcnt(63)                                // wait C (interleaved) 118 = 119 - 59 + 59 - 1
v_cvt_f32_bf8 v6, v134 src0_sel:BYTE_0   // convert bf8 in lo_byte[0] to f32
_v_mac_f32 v[vgprValuC+135], v6, s[sgprBeta]       // finalSum = sum*alpha + C*beta
v_cmp_class_f32 s[34:35], v[vgprValuC+135], v10    // check NaN and +/-INF
v_med3_f32 v6, v[vgprValuC+135], v8, v9            // Clipping f32 value if exceeds the limit
v_cndmask_b32 v6, v6, v[vgprValuC+135], s[34:35]   // 
v_cvt_pk_bf8_f32  v135, v6, v6                     // convert f32 accumulated values to fp8
buffer_store_byte v135, v11, s[sgprSrdD:sgprSrdD+3], 0, offen, offset:96,  sc0 sc1 // store D

s_waitcnt vmcnt(63)                                // wait C (interleaved) 118 = 119 - 60 + 60 - 1
v_cvt_f32_bf8 v6, v136 src0_sel:BYTE_0   // convert bf8 in lo_byte[0] to f32
_v_mac_f32 v[vgprValuC+137], v6, s[sgprBeta]       // finalSum = sum*alpha + C*beta
v_cmp_class_f32 s[34:35], v[vgprValuC+137], v10    // check NaN and +/-INF
v_med3_f32 v6, v[vgprValuC+137], v8, v9            // Clipping f32 value if exceeds the limit
v_cndmask_b32 v6, v6, v[vgprValuC+137], s[34:35]   // 
v_cvt_pk_bf8_f32  v137, v6, v6                     // convert f32 accumulated values to fp8
buffer_store_byte v137, v11, s[sgprSrdD:sgprSrdD+3], 0, offen, offset:128,  sc0 sc1 // store D

s_waitcnt vmcnt(63)                                // wait C (interleaved) 118 = 119 - 61 + 61 - 1
v_cvt_f32_bf8 v6, v138 src0_sel:BYTE_0   // convert bf8 in lo_byte[0] to f32
_v_mac_f32 v[vgprValuC+139], v6, s[sgprBeta]       // finalSum = sum*alpha + C*beta
v_cmp_class_f32 s[34:35], v[vgprValuC+139], v10    // check NaN and +/-INF
v_med3_f32 v6, v[vgprValuC+139], v8, v9            // Clipping f32 value if exceeds the limit
v_cndmask_b32 v6, v6, v[vgprValuC+139], s[34:35]   // 
v_cvt_pk_bf8_f32  v139, v6, v6                     // convert f32 accumulated values to fp8
buffer_store_byte v139, v11, s[sgprSrdD:sgprSrdD+3], 0, offen, offset:160,  sc0 sc1 // store D

s_waitcnt vmcnt(63)                                // wait C (interleaved) 118 = 119 - 62 + 62 - 1
v_cvt_f32_bf8 v6, v140 src0_sel:BYTE_0   // convert bf8 in lo_byte[0] to f32
_v_mac_f32 v[vgprValuC+141], v6, s[sgprBeta]       // finalSum = sum*alpha + C*beta
v_cmp_class_f32 s[34:35], v[vgprValuC+141], v10    // check NaN and +/-INF
v_med3_f32 v6, v[vgprValuC+141], v8, v9            // Clipping f32 value if exceeds the limit
v_cndmask_b32 v6, v6, v[vgprValuC+141], s[34:35]   // 
v_cvt_pk_bf8_f32  v141, v6, v6                     // convert f32 accumulated values to fp8
buffer_store_byte v141, v11, s[sgprSrdD:sgprSrdD+3], 0, offen, offset:192,  sc0 sc1 // store D

s_waitcnt vmcnt(63)                                // wait C (interleaved) 118 = 119 - 63 + 63 - 1
v_cvt_f32_bf8 v6, v142 src0_sel:BYTE_0   // convert bf8 in lo_byte[0] to f32
_v_mac_f32 v[vgprValuC+143], v6, s[sgprBeta]       // finalSum = sum*alpha + C*beta
v_cmp_class_f32 s[34:35], v[vgprValuC+143], v10    // check NaN and +/-INF
v_med3_f32 v6, v[vgprValuC+143], v8, v9            // Clipping f32 value if exceeds the limit
v_cndmask_b32 v6, v6, v[vgprValuC+143], s[34:35]   // 
v_cvt_pk_bf8_f32  v143, v6, v6                     // convert f32 accumulated values to fp8
buffer_store_byte v143, v11, s[sgprSrdD:sgprSrdD+3], 0, offen, offset:224,  sc0 sc1 // store D

s_waitcnt vmcnt(63)                                // wait C (interleaved) 118 = 119 - 64 + 64 - 1
v_cvt_f32_bf8 v6, v144 src0_sel:BYTE_0   // convert bf8 in lo_byte[0] to f32
_v_mac_f32 v[vgprValuC+145], v6, s[sgprBeta]       // finalSum = sum*alpha + C*beta
v_cmp_class_f32 s[34:35], v[vgprValuC+145], v10    // check NaN and +/-INF
v_med3_f32 v6, v[vgprValuC+145], v8, v9            // Clipping f32 value if exceeds the limit
v_cndmask_b32 v6, v6, v[vgprValuC+145], s[34:35]   // 
v_cvt_pk_bf8_f32  v145, v6, v6                     // convert f32 accumulated values to fp8
s_mul_i32 s34, s[sgprStrideD1J], 5                 // scale StrideD *= numRows(5) * bpe
s_add_u32  s[sgprSrdD+0], s[sgprSrdD+0], s34       // incToNextRow: gra SRD += inc(lower)
s_addc_u32  s[sgprSrdD+1], s[sgprSrdD+1], 0        // incToNextRow: gra SRD += inc(upper)
buffer_store_byte v145, v11, s[sgprSrdD:sgprSrdD+3], 0, offen, offset:0,  sc0 sc1 // store D

s_waitcnt vmcnt(63)                                // wait C (interleaved) 118 = 119 - 65 + 65 - 1
v_cvt_f32_bf8 v6, v146 src0_sel:BYTE_0   // convert bf8 in lo_byte[0] to f32
_v_mac_f32 v[vgprValuC+147], v6, s[sgprBeta]       // finalSum = sum*alpha + C*beta
v_cmp_class_f32 s[34:35], v[vgprValuC+147], v10    // check NaN and +/-INF
v_med3_f32 v6, v[vgprValuC+147], v8, v9            // Clipping f32 value if exceeds the limit
v_cndmask_b32 v6, v6, v[vgprValuC+147], s[34:35]   // 
v_cvt_pk_bf8_f32  v147, v6, v6                     // convert f32 accumulated values to fp8
buffer_store_byte v147, v11, s[sgprSrdD:sgprSrdD+3], 0, offen, offset:32,  sc0 sc1 // store D

s_waitcnt vmcnt(63)                                // wait C (interleaved) 118 = 119 - 66 + 66 - 1
v_cvt_f32_bf8 v6, v148 src0_sel:BYTE_0   // convert bf8 in lo_byte[0] to f32
_v_mac_f32 v[vgprValuC+149], v6, s[sgprBeta]       // finalSum = sum*alpha + C*beta
v_cmp_class_f32 s[34:35], v[vgprValuC+149], v10    // check NaN and +/-INF
v_med3_f32 v6, v[vgprValuC+149], v8, v9            // Clipping f32 value if exceeds the limit
v_cndmask_b32 v6, v6, v[vgprValuC+149], s[34:35]   // 
v_cvt_pk_bf8_f32  v149, v6, v6                     // convert f32 accumulated values to fp8
	;; [unrolled: 9-line block ×8, first 2 shown]
s_lshl_b32  s34, s[sgprStrideD1J], 0               // incToNextRow: Scale by BPE
s_add_u32  s[sgprSrdD+0], s[sgprSrdD+0], s34       // incToNextRow: gra SRD += inc(lower)
s_addc_u32  s[sgprSrdD+1], s[sgprSrdD+1], 0        // incToNextRow: gra SRD += inc(upper)
buffer_store_byte v161, v11, s[sgprSrdD:sgprSrdD+3], 0, offen, offset:0,  sc0 sc1 // store D

s_waitcnt vmcnt(63)                                // wait C (interleaved) 118 = 119 - 73 + 73 - 1
v_cvt_f32_bf8 v6, v162 src0_sel:BYTE_0   // convert bf8 in lo_byte[0] to f32
_v_mac_f32 v[vgprValuC+163], v6, s[sgprBeta]       // finalSum = sum*alpha + C*beta
v_cmp_class_f32 s[34:35], v[vgprValuC+163], v10    // check NaN and +/-INF
v_med3_f32 v6, v[vgprValuC+163], v8, v9            // Clipping f32 value if exceeds the limit
v_cndmask_b32 v6, v6, v[vgprValuC+163], s[34:35]   // 
v_cvt_pk_bf8_f32  v163, v6, v6                     // convert f32 accumulated values to fp8
buffer_store_byte v163, v11, s[sgprSrdD:sgprSrdD+3], 0, offen, offset:32,  sc0 sc1 // store D

s_waitcnt vmcnt(63)                                // wait C (interleaved) 118 = 119 - 74 + 74 - 1
v_cvt_f32_bf8 v6, v164 src0_sel:BYTE_0   // convert bf8 in lo_byte[0] to f32
_v_mac_f32 v[vgprValuC+165], v6, s[sgprBeta]       // finalSum = sum*alpha + C*beta
v_cmp_class_f32 s[34:35], v[vgprValuC+165], v10    // check NaN and +/-INF
v_med3_f32 v6, v[vgprValuC+165], v8, v9            // Clipping f32 value if exceeds the limit
v_cndmask_b32 v6, v6, v[vgprValuC+165], s[34:35]   // 
v_cvt_pk_bf8_f32  v165, v6, v6                     // convert f32 accumulated values to fp8
	;; [unrolled: 9-line block ×8, first 2 shown]
s_lshl_b32  s34, s[sgprStrideD1J], 0               // incToNextRow: Scale by BPE
s_add_u32  s[sgprSrdD+0], s[sgprSrdD+0], s34       // incToNextRow: gra SRD += inc(lower)
s_addc_u32  s[sgprSrdD+1], s[sgprSrdD+1], 0        // incToNextRow: gra SRD += inc(upper)
buffer_store_byte v177, v11, s[sgprSrdD:sgprSrdD+3], 0, offen, offset:0,  sc0 sc1 // store D

s_waitcnt vmcnt(63)                                // wait C (interleaved) 118 = 119 - 81 + 81 - 1
v_cvt_f32_bf8 v6, v178 src0_sel:BYTE_0   // convert bf8 in lo_byte[0] to f32
_v_mac_f32 v[vgprValuC+179], v6, s[sgprBeta]       // finalSum = sum*alpha + C*beta
v_cmp_class_f32 s[34:35], v[vgprValuC+179], v10    // check NaN and +/-INF
v_med3_f32 v6, v[vgprValuC+179], v8, v9            // Clipping f32 value if exceeds the limit
v_cndmask_b32 v6, v6, v[vgprValuC+179], s[34:35]   // 
v_cvt_pk_bf8_f32  v179, v6, v6                     // convert f32 accumulated values to fp8
buffer_store_byte v179, v11, s[sgprSrdD:sgprSrdD+3], 0, offen, offset:32,  sc0 sc1 // store D

s_waitcnt vmcnt(63)                                // wait C (interleaved) 118 = 119 - 82 + 82 - 1
v_cvt_f32_bf8 v6, v180 src0_sel:BYTE_0   // convert bf8 in lo_byte[0] to f32
_v_mac_f32 v[vgprValuC+181], v6, s[sgprBeta]       // finalSum = sum*alpha + C*beta
v_cmp_class_f32 s[34:35], v[vgprValuC+181], v10    // check NaN and +/-INF
v_med3_f32 v6, v[vgprValuC+181], v8, v9            // Clipping f32 value if exceeds the limit
v_cndmask_b32 v6, v6, v[vgprValuC+181], s[34:35]   // 
v_cvt_pk_bf8_f32  v181, v6, v6                     // convert f32 accumulated values to fp8
	;; [unrolled: 9-line block ×8, first 2 shown]
s_lshl_b32  s34, s[sgprStrideD1J], 0               // incToNextRow: Scale by BPE
s_add_u32  s[sgprSrdD+0], s[sgprSrdD+0], s34       // incToNextRow: gra SRD += inc(lower)
s_addc_u32  s[sgprSrdD+1], s[sgprSrdD+1], 0        // incToNextRow: gra SRD += inc(upper)
buffer_store_byte v193, v11, s[sgprSrdD:sgprSrdD+3], 0, offen, offset:0,  sc0 sc1 // store D

s_waitcnt vmcnt(63)                                // wait C (interleaved) 118 = 119 - 89 + 89 - 1
v_cvt_f32_bf8 v6, v194 src0_sel:BYTE_0   // convert bf8 in lo_byte[0] to f32
_v_mac_f32 v[vgprValuC+195], v6, s[sgprBeta]       // finalSum = sum*alpha + C*beta
v_cmp_class_f32 s[34:35], v[vgprValuC+195], v10    // check NaN and +/-INF
v_med3_f32 v6, v[vgprValuC+195], v8, v9            // Clipping f32 value if exceeds the limit
v_cndmask_b32 v6, v6, v[vgprValuC+195], s[34:35]   // 
v_cvt_pk_bf8_f32  v195, v6, v6                     // convert f32 accumulated values to fp8
buffer_store_byte v195, v11, s[sgprSrdD:sgprSrdD+3], 0, offen, offset:32,  sc0 sc1 // store D

s_waitcnt vmcnt(63)                                // wait C (interleaved) 118 = 119 - 90 + 90 - 1
v_cvt_f32_bf8 v6, v196 src0_sel:BYTE_0   // convert bf8 in lo_byte[0] to f32
_v_mac_f32 v[vgprValuC+197], v6, s[sgprBeta]       // finalSum = sum*alpha + C*beta
v_cmp_class_f32 s[34:35], v[vgprValuC+197], v10    // check NaN and +/-INF
v_med3_f32 v6, v[vgprValuC+197], v8, v9            // Clipping f32 value if exceeds the limit
v_cndmask_b32 v6, v6, v[vgprValuC+197], s[34:35]   // 
v_cvt_pk_bf8_f32  v197, v6, v6                     // convert f32 accumulated values to fp8
	;; [unrolled: 9-line block ×8, first 2 shown]
s_mul_i32 s34, s[sgprStrideD1J], 5                 // scale StrideD *= numRows(5) * bpe
s_add_u32  s[sgprSrdD+0], s[sgprSrdD+0], s34       // incToNextRow: gra SRD += inc(lower)
s_addc_u32  s[sgprSrdD+1], s[sgprSrdD+1], 0        // incToNextRow: gra SRD += inc(upper)
buffer_store_byte v209, v11, s[sgprSrdD:sgprSrdD+3], 0, offen, offset:0,  sc0 sc1 // store D

s_waitcnt vmcnt(63)                                // wait C (interleaved) 118 = 119 - 97 + 97 - 1
v_cvt_f32_bf8 v6, v210 src0_sel:BYTE_0   // convert bf8 in lo_byte[0] to f32
_v_mac_f32 v[vgprValuC+211], v6, s[sgprBeta]       // finalSum = sum*alpha + C*beta
v_cmp_class_f32 s[34:35], v[vgprValuC+211], v10    // check NaN and +/-INF
v_med3_f32 v6, v[vgprValuC+211], v8, v9            // Clipping f32 value if exceeds the limit
v_cndmask_b32 v6, v6, v[vgprValuC+211], s[34:35]   // 
v_cvt_pk_bf8_f32  v211, v6, v6                     // convert f32 accumulated values to fp8
buffer_store_byte v211, v11, s[sgprSrdD:sgprSrdD+3], 0, offen, offset:32,  sc0 sc1 // store D

s_waitcnt vmcnt(63)                                // wait C (interleaved) 118 = 119 - 98 + 98 - 1
v_cvt_f32_bf8 v6, v212 src0_sel:BYTE_0   // convert bf8 in lo_byte[0] to f32
_v_mac_f32 v[vgprValuC+213], v6, s[sgprBeta]       // finalSum = sum*alpha + C*beta
v_cmp_class_f32 s[34:35], v[vgprValuC+213], v10    // check NaN and +/-INF
v_med3_f32 v6, v[vgprValuC+213], v8, v9            // Clipping f32 value if exceeds the limit
v_cndmask_b32 v6, v6, v[vgprValuC+213], s[34:35]   // 
v_cvt_pk_bf8_f32  v213, v6, v6                     // convert f32 accumulated values to fp8
	;; [unrolled: 9-line block ×8, first 2 shown]
s_lshl_b32  s34, s[sgprStrideD1J], 0               // incToNextRow: Scale by BPE
s_add_u32  s[sgprSrdD+0], s[sgprSrdD+0], s34       // incToNextRow: gra SRD += inc(lower)
s_addc_u32  s[sgprSrdD+1], s[sgprSrdD+1], 0        // incToNextRow: gra SRD += inc(upper)
buffer_store_byte v225, v11, s[sgprSrdD:sgprSrdD+3], 0, offen, offset:0,  sc0 sc1 // store D

s_waitcnt vmcnt(63)                                // wait C (interleaved) 118 = 119 - 105 + 105 - 1
v_cvt_f32_bf8 v6, v226 src0_sel:BYTE_0   // convert bf8 in lo_byte[0] to f32
_v_mac_f32 v[vgprValuC+227], v6, s[sgprBeta]       // finalSum = sum*alpha + C*beta
v_cmp_class_f32 s[34:35], v[vgprValuC+227], v10    // check NaN and +/-INF
v_med3_f32 v6, v[vgprValuC+227], v8, v9            // Clipping f32 value if exceeds the limit
v_cndmask_b32 v6, v6, v[vgprValuC+227], s[34:35]   // 
v_cvt_pk_bf8_f32  v227, v6, v6                     // convert f32 accumulated values to fp8
buffer_store_byte v227, v11, s[sgprSrdD:sgprSrdD+3], 0, offen, offset:32,  sc0 sc1 // store D

s_waitcnt vmcnt(63)                                // wait C (interleaved) 118 = 119 - 106 + 106 - 1
v_cvt_f32_bf8 v6, v228 src0_sel:BYTE_0   // convert bf8 in lo_byte[0] to f32
_v_mac_f32 v[vgprValuC+229], v6, s[sgprBeta]       // finalSum = sum*alpha + C*beta
v_cmp_class_f32 s[34:35], v[vgprValuC+229], v10    // check NaN and +/-INF
v_med3_f32 v6, v[vgprValuC+229], v8, v9            // Clipping f32 value if exceeds the limit
v_cndmask_b32 v6, v6, v[vgprValuC+229], s[34:35]   // 
v_cvt_pk_bf8_f32  v229, v6, v6                     // convert f32 accumulated values to fp8
	;; [unrolled: 9-line block ×8, first 2 shown]
s_lshl_b32  s34, s[sgprStrideD1J], 0               // incToNextRow: Scale by BPE
s_add_u32  s[sgprSrdD+0], s[sgprSrdD+0], s34       // incToNextRow: gra SRD += inc(lower)
s_addc_u32  s[sgprSrdD+1], s[sgprSrdD+1], 0        // incToNextRow: gra SRD += inc(upper)
buffer_store_byte v241, v11, s[sgprSrdD:sgprSrdD+3], 0, offen, offset:0,  sc0 sc1 // store D

s_waitcnt vmcnt(63)                                // wait C (interleaved) 118 = 119 - 113 + 113 - 1
v_cvt_f32_bf8 v6, v242 src0_sel:BYTE_0   // convert bf8 in lo_byte[0] to f32
_v_mac_f32 v[vgprValuC+243], v6, s[sgprBeta]       // finalSum = sum*alpha + C*beta
v_cmp_class_f32 s[34:35], v[vgprValuC+243], v10    // check NaN and +/-INF
v_med3_f32 v6, v[vgprValuC+243], v8, v9            // Clipping f32 value if exceeds the limit
v_cndmask_b32 v6, v6, v[vgprValuC+243], s[34:35]   // 
v_cvt_pk_bf8_f32  v243, v6, v6                     // convert f32 accumulated values to fp8
buffer_store_byte v243, v11, s[sgprSrdD:sgprSrdD+3], 0, offen, offset:32,  sc0 sc1 // store D

s_waitcnt vmcnt(63)                                // wait C (interleaved) 118 = 119 - 114 + 114 - 1
v_cvt_f32_bf8 v6, v244 src0_sel:BYTE_0   // convert bf8 in lo_byte[0] to f32
_v_mac_f32 v[vgprValuC+245], v6, s[sgprBeta]       // finalSum = sum*alpha + C*beta
v_cmp_class_f32 s[34:35], v[vgprValuC+245], v10    // check NaN and +/-INF
v_med3_f32 v6, v[vgprValuC+245], v8, v9            // Clipping f32 value if exceeds the limit
v_cndmask_b32 v6, v6, v[vgprValuC+245], s[34:35]   // 
v_cvt_pk_bf8_f32  v245, v6, v6                     // convert f32 accumulated values to fp8
	;; [unrolled: 9-line block ×6, first 2 shown]
buffer_store_byte v253, v11, s[sgprSrdD:sgprSrdD+3], 0, offen, offset:192,  sc0 sc1 // store D
s_nop 0                                            // 1 wait state required when next inst writes vgprs held by previous dwordx4 store inst
/* optSingleColVgpr=1 optSharedColVgpr=0 optSGPRUsage=BufferLoad_Mask optSrdIncForRow=1 */
s_sleep 3 // optimization: sync and wait
s_barrier

/******************************************/
/* Global Write Alpha Beta Batch #1 (d1,d0,vc1,vc0) = */
/*    (3,7,2,0:vw1); (3,0,3,0:vw1); (3,1,3,0:vw1); (3,2,3,0:vw1); (3,3,3,0:vw1); (3,4,3,0:vw1); (3,5,3,0:vw1); (3,6,3,0:vw1); (3,7,3,0:vw1); (4,0,0,0:vw1); (4,1,0,0:vw1); (4,2,0,0:vw1); (4,3,0,0:vw1); (4,4,0,0:vw1); (4,5,0,0:vw1); (4,6,0,0:vw1); (4,7,0,0:vw1); (4,0,1,0:vw1); (4,1,1,0:vw1); (4,2,1,0:vw1); (4,3,1,0:vw1); (4,4,1,0:vw1); (4,5,1,0:vw1); (4,6,1,0:vw1); (4,7,1,0:vw1); (4,0,2,0:vw1); (4,1,2,0:vw1); (4,2,2,0:vw1); (4,3,2,0:vw1); (4,4,2,0:vw1); (4,5,2,0:vw1); (4,6,2,0:vw1); (4,7,2,0:vw1); (4,0,3,0:vw1); (4,1,3,0:vw1); (4,2,3,0:vw1); (4,3,3,0:vw1); (4,4,3,0:vw1); (4,5,3,0:vw1); (4,6,3,0:vw1); (4,7,3,0:vw1); (5,0,0,0:vw1); (5,1,0,0:vw1); (5,2,0,0:vw1); (5,3,0,0:vw1); (5,4,0,0:vw1); (5,5,0,0:vw1); (5,6,0,0:vw1); (5,7,0,0:vw1); (5,0,1,0:vw1); (5,1,1,0:vw1); (5,2,1,0:vw1); (5,3,1,0:vw1); (5,4,1,0:vw1); (5,5,1,0:vw1); (5,6,1,0:vw1); (5,7,1,0:vw1); (5,0,2,0:vw1); (5,1,2,0:vw1); (5,2,2,0:vw1); (5,3,2,0:vw1); (5,4,2,0:vw1); (5,5,2,0:vw1); (5,6,2,0:vw1); (5,7,2,0:vw1); (5,0,3,0:vw1); (5,1,3,0:vw1); (5,2,3,0:vw1); (5,3,3,0:vw1); (5,4,3,0:vw1); (5,5,3,0:vw1); (5,6,3,0:vw1); (5,7,3,0:vw1); (6,0,0,0:vw1); (6,1,0,0:vw1); (6,2,0,0:vw1); (6,3,0,0:vw1); (6,4,0,0:vw1); (6,5,0,0:vw1); (6,6,0,0:vw1); (6,7,0,0:vw1); (6,0,1,0:vw1); (6,1,1,0:vw1); (6,2,1,0:vw1); (6,3,1,0:vw1); (6,4,1,0:vw1); (6,5,1,0:vw1); (6,6,1,0:vw1); (6,7,1,0:vw1); (6,0,2,0:vw1); (6,1,2,0:vw1); (6,2,2,0:vw1); (6,3,2,0:vw1); (6,4,2,0:vw1); (6,5,2,0:vw1); (6,6,2,0:vw1); (6,7,2,0:vw1); (6,0,3,0:vw1); (6,1,3,0:vw1); (6,2,3,0:vw1); (6,3,3,0:vw1); (6,4,3,0:vw1); (6,5,3,0:vw1); (6,6,3,0:vw1); (6,7,3,0:vw1); (7,0,0,0:vw1); (7,1,0,0:vw1); (7,2,0,0:vw1); (7,3,0,0:vw1); (7,4,0,0:vw1); (7,5,0,0:vw1); (7,6,0,0:vw1); (7,7,0,0:vw1); (7,0,1,0:vw1); (7,1,1,0:vw1); (7,2,1,0:vw1); (7,3,1,0:vw1); (7,4,1,0:vw1); (7,5,1,0:vw1) */
/******************************************/

/* calc coords, apply mask, and issue loads (if necessary) */
/* (d1,vc1,d0,vc0)=(3,2,7,0) */
buffer_load_ubyte v13, v12, s[sgprSrdC:sgprSrdC+3], 0, offen offset:224,  sc0 sc1 // load C for beta calc
/* (d1,vc1,d0,vc0)=(3,3,0,0) */
s_lshl_b32  s34, s[sgprStrideC1J], 0               // incToNextRow: Scale by BPE
s_add_u32  s[sgprSrdC+0], s[sgprSrdC+0], s34       // incToNextRow: gra SRD += inc(lower)
s_addc_u32  s[sgprSrdC+1], s[sgprSrdC+1], 0        // incToNextRow: gra SRD += inc(upper)
buffer_load_ubyte v15, v12, s[sgprSrdC:sgprSrdC+3], 0, offen offset:0,  sc0 sc1 // load C for beta calc
/* (d1,vc1,d0,vc0)=(3,3,1,0) */
buffer_load_ubyte v17, v12, s[sgprSrdC:sgprSrdC+3], 0, offen offset:32,  sc0 sc1 // load C for beta calc
/* (d1,vc1,d0,vc0)=(3,3,2,0) */
	;; [unrolled: 2-line block ×8, first 2 shown]
s_mul_i32 s34, s[sgprStrideC1J], 101               // scale StrideC *= numRows(101) * bpe
s_add_u32  s[sgprSrdC+0], s[sgprSrdC+0], s34       // incToNextRow: gra SRD += inc(lower)
s_addc_u32  s[sgprSrdC+1], s[sgprSrdC+1], 0        // incToNextRow: gra SRD += inc(upper)
buffer_load_ubyte v31, v12, s[sgprSrdC:sgprSrdC+3], 0, offen offset:0,  sc0 sc1 // load C for beta calc
/* (d1,vc1,d0,vc0)=(4,0,1,0) */
buffer_load_ubyte v33, v12, s[sgprSrdC:sgprSrdC+3], 0, offen offset:32,  sc0 sc1 // load C for beta calc
/* (d1,vc1,d0,vc0)=(4,0,2,0) */
buffer_load_ubyte v35, v12, s[sgprSrdC:sgprSrdC+3], 0, offen offset:64,  sc0 sc1 // load C for beta calc
/* (d1,vc1,d0,vc0)=(4,0,3,0) */
buffer_load_ubyte v37, v12, s[sgprSrdC:sgprSrdC+3], 0, offen offset:96,  sc0 sc1 // load C for beta calc
/* (d1,vc1,d0,vc0)=(4,0,4,0) */
buffer_load_ubyte v39, v12, s[sgprSrdC:sgprSrdC+3], 0, offen offset:128,  sc0 sc1 // load C for beta calc
/* (d1,vc1,d0,vc0)=(4,0,5,0) */
buffer_load_ubyte v41, v12, s[sgprSrdC:sgprSrdC+3], 0, offen offset:160,  sc0 sc1 // load C for beta calc
/* (d1,vc1,d0,vc0)=(4,0,6,0) */
buffer_load_ubyte v43, v12, s[sgprSrdC:sgprSrdC+3], 0, offen offset:192,  sc0 sc1 // load C for beta calc
/* (d1,vc1,d0,vc0)=(4,0,7,0) */
buffer_load_ubyte v45, v12, s[sgprSrdC:sgprSrdC+3], 0, offen offset:224,  sc0 sc1 // load C for beta calc
/* (d1,vc1,d0,vc0)=(4,1,0,0) */
s_lshl_b32  s34, s[sgprStrideC1J], 0               // incToNextRow: Scale by BPE
s_add_u32  s[sgprSrdC+0], s[sgprSrdC+0], s34       // incToNextRow: gra SRD += inc(lower)
s_addc_u32  s[sgprSrdC+1], s[sgprSrdC+1], 0        // incToNextRow: gra SRD += inc(upper)
buffer_load_ubyte v47, v12, s[sgprSrdC:sgprSrdC+3], 0, offen offset:0,  sc0 sc1 // load C for beta calc
/* (d1,vc1,d0,vc0)=(4,1,1,0) */
buffer_load_ubyte v49, v12, s[sgprSrdC:sgprSrdC+3], 0, offen offset:32,  sc0 sc1 // load C for beta calc
/* (d1,vc1,d0,vc0)=(4,1,2,0) */
buffer_load_ubyte v51, v12, s[sgprSrdC:sgprSrdC+3], 0, offen offset:64,  sc0 sc1 // load C for beta calc
/* (d1,vc1,d0,vc0)=(4,1,3,0) */
buffer_load_ubyte v53, v12, s[sgprSrdC:sgprSrdC+3], 0, offen offset:96,  sc0 sc1 // load C for beta calc
/* (d1,vc1,d0,vc0)=(4,1,4,0) */
buffer_load_ubyte v55, v12, s[sgprSrdC:sgprSrdC+3], 0, offen offset:128,  sc0 sc1 // load C for beta calc
/* (d1,vc1,d0,vc0)=(4,1,5,0) */
buffer_load_ubyte v57, v12, s[sgprSrdC:sgprSrdC+3], 0, offen offset:160,  sc0 sc1 // load C for beta calc
/* (d1,vc1,d0,vc0)=(4,1,6,0) */
buffer_load_ubyte v59, v12, s[sgprSrdC:sgprSrdC+3], 0, offen offset:192,  sc0 sc1 // load C for beta calc
/* (d1,vc1,d0,vc0)=(4,1,7,0) */
buffer_load_ubyte v61, v12, s[sgprSrdC:sgprSrdC+3], 0, offen offset:224,  sc0 sc1 // load C for beta calc
/* (d1,vc1,d0,vc0)=(4,2,0,0) */
s_lshl_b32  s34, s[sgprStrideC1J], 0               // incToNextRow: Scale by BPE
	;; [unrolled: 19-line block ×3, first 2 shown]
s_add_u32  s[sgprSrdC+0], s[sgprSrdC+0], s34       // incToNextRow: gra SRD += inc(lower)
s_addc_u32  s[sgprSrdC+1], s[sgprSrdC+1], 0        // incToNextRow: gra SRD += inc(upper)
buffer_load_ubyte v79, v12, s[sgprSrdC:sgprSrdC+3], 0, offen offset:0,  sc0 sc1 // load C for beta calc
/* (d1,vc1,d0,vc0)=(4,3,1,0) */
buffer_load_ubyte v81, v12, s[sgprSrdC:sgprSrdC+3], 0, offen offset:32,  sc0 sc1 // load C for beta calc
/* (d1,vc1,d0,vc0)=(4,3,2,0) */
	;; [unrolled: 2-line block ×8, first 2 shown]
s_mul_i32 s34, s[sgprStrideC1J], 5                 // scale StrideC *= numRows(5) * bpe
s_add_u32  s[sgprSrdC+0], s[sgprSrdC+0], s34       // incToNextRow: gra SRD += inc(lower)
s_addc_u32  s[sgprSrdC+1], s[sgprSrdC+1], 0        // incToNextRow: gra SRD += inc(upper)
buffer_load_ubyte v95, v12, s[sgprSrdC:sgprSrdC+3], 0, offen offset:0,  sc0 sc1 // load C for beta calc
/* (d1,vc1,d0,vc0)=(5,0,1,0) */
buffer_load_ubyte v97, v12, s[sgprSrdC:sgprSrdC+3], 0, offen offset:32,  sc0 sc1 // load C for beta calc
/* (d1,vc1,d0,vc0)=(5,0,2,0) */
buffer_load_ubyte v99, v12, s[sgprSrdC:sgprSrdC+3], 0, offen offset:64,  sc0 sc1 // load C for beta calc
/* (d1,vc1,d0,vc0)=(5,0,3,0) */
buffer_load_ubyte v101, v12, s[sgprSrdC:sgprSrdC+3], 0, offen offset:96,  sc0 sc1 // load C for beta calc
/* (d1,vc1,d0,vc0)=(5,0,4,0) */
buffer_load_ubyte v103, v12, s[sgprSrdC:sgprSrdC+3], 0, offen offset:128,  sc0 sc1 // load C for beta calc
/* (d1,vc1,d0,vc0)=(5,0,5,0) */
buffer_load_ubyte v105, v12, s[sgprSrdC:sgprSrdC+3], 0, offen offset:160,  sc0 sc1 // load C for beta calc
/* (d1,vc1,d0,vc0)=(5,0,6,0) */
buffer_load_ubyte v107, v12, s[sgprSrdC:sgprSrdC+3], 0, offen offset:192,  sc0 sc1 // load C for beta calc
/* (d1,vc1,d0,vc0)=(5,0,7,0) */
buffer_load_ubyte v109, v12, s[sgprSrdC:sgprSrdC+3], 0, offen offset:224,  sc0 sc1 // load C for beta calc
/* (d1,vc1,d0,vc0)=(5,1,0,0) */
s_lshl_b32  s34, s[sgprStrideC1J], 0               // incToNextRow: Scale by BPE
s_add_u32  s[sgprSrdC+0], s[sgprSrdC+0], s34       // incToNextRow: gra SRD += inc(lower)
s_addc_u32  s[sgprSrdC+1], s[sgprSrdC+1], 0        // incToNextRow: gra SRD += inc(upper)
buffer_load_ubyte v111, v12, s[sgprSrdC:sgprSrdC+3], 0, offen offset:0,  sc0 sc1 // load C for beta calc
/* (d1,vc1,d0,vc0)=(5,1,1,0) */
buffer_load_ubyte v113, v12, s[sgprSrdC:sgprSrdC+3], 0, offen offset:32,  sc0 sc1 // load C for beta calc
/* (d1,vc1,d0,vc0)=(5,1,2,0) */
buffer_load_ubyte v115, v12, s[sgprSrdC:sgprSrdC+3], 0, offen offset:64,  sc0 sc1 // load C for beta calc
/* (d1,vc1,d0,vc0)=(5,1,3,0) */
buffer_load_ubyte v120, v12, s[sgprSrdC:sgprSrdC+3], 0, offen offset:96,  sc0 sc1 // load C for beta calc
/* (d1,vc1,d0,vc0)=(5,1,4,0) */
buffer_load_ubyte v122, v12, s[sgprSrdC:sgprSrdC+3], 0, offen offset:128,  sc0 sc1 // load C for beta calc
/* (d1,vc1,d0,vc0)=(5,1,5,0) */
buffer_load_ubyte v124, v12, s[sgprSrdC:sgprSrdC+3], 0, offen offset:160,  sc0 sc1 // load C for beta calc
/* (d1,vc1,d0,vc0)=(5,1,6,0) */
buffer_load_ubyte v126, v12, s[sgprSrdC:sgprSrdC+3], 0, offen offset:192,  sc0 sc1 // load C for beta calc
/* (d1,vc1,d0,vc0)=(5,1,7,0) */
buffer_load_ubyte v128, v12, s[sgprSrdC:sgprSrdC+3], 0, offen offset:224,  sc0 sc1 // load C for beta calc
/* (d1,vc1,d0,vc0)=(5,2,0,0) */
s_lshl_b32  s34, s[sgprStrideC1J], 0               // incToNextRow: Scale by BPE
s_add_u32  s[sgprSrdC+0], s[sgprSrdC+0], s34       // incToNextRow: gra SRD += inc(lower)
s_addc_u32  s[sgprSrdC+1], s[sgprSrdC+1], 0        // incToNextRow: gra SRD += inc(upper)
buffer_load_ubyte v130, v12, s[sgprSrdC:sgprSrdC+3], 0, offen offset:0,  sc0 sc1 // load C for beta calc
/* (d1,vc1,d0,vc0)=(5,2,1,0) */
buffer_load_ubyte v132, v12, s[sgprSrdC:sgprSrdC+3], 0, offen offset:32,  sc0 sc1 // load C for beta calc
/* (d1,vc1,d0,vc0)=(5,2,2,0) */
buffer_load_ubyte v134, v12, s[sgprSrdC:sgprSrdC+3], 0, offen offset:64,  sc0 sc1 // load C for beta calc
/* (d1,vc1,d0,vc0)=(5,2,3,0) */
buffer_load_ubyte v136, v12, s[sgprSrdC:sgprSrdC+3], 0, offen offset:96,  sc0 sc1 // load C for beta calc
/* (d1,vc1,d0,vc0)=(5,2,4,0) */
buffer_load_ubyte v138, v12, s[sgprSrdC:sgprSrdC+3], 0, offen offset:128,  sc0 sc1 // load C for beta calc
/* (d1,vc1,d0,vc0)=(5,2,5,0) */
buffer_load_ubyte v140, v12, s[sgprSrdC:sgprSrdC+3], 0, offen offset:160,  sc0 sc1 // load C for beta calc
/* (d1,vc1,d0,vc0)=(5,2,6,0) */
buffer_load_ubyte v142, v12, s[sgprSrdC:sgprSrdC+3], 0, offen offset:192,  sc0 sc1 // load C for beta calc
/* (d1,vc1,d0,vc0)=(5,2,7,0) */
buffer_load_ubyte v144, v12, s[sgprSrdC:sgprSrdC+3], 0, offen offset:224,  sc0 sc1 // load C for beta calc
/* (d1,vc1,d0,vc0)=(5,3,0,0) */
s_lshl_b32  s34, s[sgprStrideC1J], 0               // incToNextRow: Scale by BPE
s_add_u32  s[sgprSrdC+0], s[sgprSrdC+0], s34       // incToNextRow: gra SRD += inc(lower)
s_addc_u32  s[sgprSrdC+1], s[sgprSrdC+1], 0        // incToNextRow: gra SRD += inc(upper)
buffer_load_ubyte v146, v12, s[sgprSrdC:sgprSrdC+3], 0, offen offset:0,  sc0 sc1 // load C for beta calc
/* (d1,vc1,d0,vc0)=(5,3,1,0) */
buffer_load_ubyte v148, v12, s[sgprSrdC:sgprSrdC+3], 0, offen offset:32,  sc0 sc1 // load C for beta calc
/* (d1,vc1,d0,vc0)=(5,3,2,0) */
buffer_load_ubyte v150, v12, s[sgprSrdC:sgprSrdC+3], 0, offen offset:64,  sc0 sc1 // load C for beta calc
/* (d1,vc1,d0,vc0)=(5,3,3,0) */
buffer_load_ubyte v152, v12, s[sgprSrdC:sgprSrdC+3], 0, offen offset:96,  sc0 sc1 // load C for beta calc
/* (d1,vc1,d0,vc0)=(5,3,4,0) */
buffer_load_ubyte v154, v12, s[sgprSrdC:sgprSrdC+3], 0, offen offset:128,  sc0 sc1 // load C for beta calc
/* (d1,vc1,d0,vc0)=(5,3,5,0) */
buffer_load_ubyte v156, v12, s[sgprSrdC:sgprSrdC+3], 0, offen offset:160,  sc0 sc1 // load C for beta calc
/* (d1,vc1,d0,vc0)=(5,3,6,0) */
buffer_load_ubyte v158, v12, s[sgprSrdC:sgprSrdC+3], 0, offen offset:192,  sc0 sc1 // load C for beta calc
/* (d1,vc1,d0,vc0)=(5,3,7,0) */
buffer_load_ubyte v160, v12, s[sgprSrdC:sgprSrdC+3], 0, offen offset:224,  sc0 sc1 // load C for beta calc
/* (d1,vc1,d0,vc0)=(6,0,0,0) */
s_mul_i32 s34, s[sgprStrideC1J], 5                 // scale StrideC *= numRows(5) * bpe
s_add_u32  s[sgprSrdC+0], s[sgprSrdC+0], s34       // incToNextRow: gra SRD += inc(lower)
s_addc_u32  s[sgprSrdC+1], s[sgprSrdC+1], 0        // incToNextRow: gra SRD += inc(upper)
buffer_load_ubyte v162, v12, s[sgprSrdC:sgprSrdC+3], 0, offen offset:0,  sc0 sc1 // load C for beta calc
/* (d1,vc1,d0,vc0)=(6,0,1,0) */
buffer_load_ubyte v164, v12, s[sgprSrdC:sgprSrdC+3], 0, offen offset:32,  sc0 sc1 // load C for beta calc
/* (d1,vc1,d0,vc0)=(6,0,2,0) */
buffer_load_ubyte v166, v12, s[sgprSrdC:sgprSrdC+3], 0, offen offset:64,  sc0 sc1 // load C for beta calc
/* (d1,vc1,d0,vc0)=(6,0,3,0) */
buffer_load_ubyte v168, v12, s[sgprSrdC:sgprSrdC+3], 0, offen offset:96,  sc0 sc1 // load C for beta calc
/* (d1,vc1,d0,vc0)=(6,0,4,0) */
buffer_load_ubyte v170, v12, s[sgprSrdC:sgprSrdC+3], 0, offen offset:128,  sc0 sc1 // load C for beta calc
/* (d1,vc1,d0,vc0)=(6,0,5,0) */
buffer_load_ubyte v172, v12, s[sgprSrdC:sgprSrdC+3], 0, offen offset:160,  sc0 sc1 // load C for beta calc
/* (d1,vc1,d0,vc0)=(6,0,6,0) */
buffer_load_ubyte v174, v12, s[sgprSrdC:sgprSrdC+3], 0, offen offset:192,  sc0 sc1 // load C for beta calc
/* (d1,vc1,d0,vc0)=(6,0,7,0) */
buffer_load_ubyte v176, v12, s[sgprSrdC:sgprSrdC+3], 0, offen offset:224,  sc0 sc1 // load C for beta calc
/* (d1,vc1,d0,vc0)=(6,1,0,0) */
s_lshl_b32  s34, s[sgprStrideC1J], 0               // incToNextRow: Scale by BPE
s_add_u32  s[sgprSrdC+0], s[sgprSrdC+0], s34       // incToNextRow: gra SRD += inc(lower)
s_addc_u32  s[sgprSrdC+1], s[sgprSrdC+1], 0        // incToNextRow: gra SRD += inc(upper)
buffer_load_ubyte v178, v12, s[sgprSrdC:sgprSrdC+3], 0, offen offset:0,  sc0 sc1 // load C for beta calc
/* (d1,vc1,d0,vc0)=(6,1,1,0) */
buffer_load_ubyte v180, v12, s[sgprSrdC:sgprSrdC+3], 0, offen offset:32,  sc0 sc1 // load C for beta calc
/* (d1,vc1,d0,vc0)=(6,1,2,0) */
buffer_load_ubyte v182, v12, s[sgprSrdC:sgprSrdC+3], 0, offen offset:64,  sc0 sc1 // load C for beta calc
/* (d1,vc1,d0,vc0)=(6,1,3,0) */
buffer_load_ubyte v184, v12, s[sgprSrdC:sgprSrdC+3], 0, offen offset:96,  sc0 sc1 // load C for beta calc
/* (d1,vc1,d0,vc0)=(6,1,4,0) */
buffer_load_ubyte v186, v12, s[sgprSrdC:sgprSrdC+3], 0, offen offset:128,  sc0 sc1 // load C for beta calc
/* (d1,vc1,d0,vc0)=(6,1,5,0) */
buffer_load_ubyte v188, v12, s[sgprSrdC:sgprSrdC+3], 0, offen offset:160,  sc0 sc1 // load C for beta calc
/* (d1,vc1,d0,vc0)=(6,1,6,0) */
buffer_load_ubyte v190, v12, s[sgprSrdC:sgprSrdC+3], 0, offen offset:192,  sc0 sc1 // load C for beta calc
/* (d1,vc1,d0,vc0)=(6,1,7,0) */
buffer_load_ubyte v192, v12, s[sgprSrdC:sgprSrdC+3], 0, offen offset:224,  sc0 sc1 // load C for beta calc
/* (d1,vc1,d0,vc0)=(6,2,0,0) */
s_lshl_b32  s34, s[sgprStrideC1J], 0               // incToNextRow: Scale by BPE
	;; [unrolled: 19-line block ×3, first 2 shown]
s_add_u32  s[sgprSrdC+0], s[sgprSrdC+0], s34       // incToNextRow: gra SRD += inc(lower)
s_addc_u32  s[sgprSrdC+1], s[sgprSrdC+1], 0        // incToNextRow: gra SRD += inc(upper)
buffer_load_ubyte v210, v12, s[sgprSrdC:sgprSrdC+3], 0, offen offset:0,  sc0 sc1 // load C for beta calc
/* (d1,vc1,d0,vc0)=(6,3,1,0) */
buffer_load_ubyte v212, v12, s[sgprSrdC:sgprSrdC+3], 0, offen offset:32,  sc0 sc1 // load C for beta calc
/* (d1,vc1,d0,vc0)=(6,3,2,0) */
	;; [unrolled: 2-line block ×8, first 2 shown]
s_mul_i32 s34, s[sgprStrideC1J], 5                 // scale StrideC *= numRows(5) * bpe
s_add_u32  s[sgprSrdC+0], s[sgprSrdC+0], s34       // incToNextRow: gra SRD += inc(lower)
s_addc_u32  s[sgprSrdC+1], s[sgprSrdC+1], 0        // incToNextRow: gra SRD += inc(upper)
buffer_load_ubyte v226, v12, s[sgprSrdC:sgprSrdC+3], 0, offen offset:0,  sc0 sc1 // load C for beta calc
/* (d1,vc1,d0,vc0)=(7,0,1,0) */
buffer_load_ubyte v228, v12, s[sgprSrdC:sgprSrdC+3], 0, offen offset:32,  sc0 sc1 // load C for beta calc
/* (d1,vc1,d0,vc0)=(7,0,2,0) */
buffer_load_ubyte v230, v12, s[sgprSrdC:sgprSrdC+3], 0, offen offset:64,  sc0 sc1 // load C for beta calc
/* (d1,vc1,d0,vc0)=(7,0,3,0) */
buffer_load_ubyte v232, v12, s[sgprSrdC:sgprSrdC+3], 0, offen offset:96,  sc0 sc1 // load C for beta calc
/* (d1,vc1,d0,vc0)=(7,0,4,0) */
buffer_load_ubyte v234, v12, s[sgprSrdC:sgprSrdC+3], 0, offen offset:128,  sc0 sc1 // load C for beta calc
/* (d1,vc1,d0,vc0)=(7,0,5,0) */
buffer_load_ubyte v236, v12, s[sgprSrdC:sgprSrdC+3], 0, offen offset:160,  sc0 sc1 // load C for beta calc
/* (d1,vc1,d0,vc0)=(7,0,6,0) */
buffer_load_ubyte v238, v12, s[sgprSrdC:sgprSrdC+3], 0, offen offset:192,  sc0 sc1 // load C for beta calc
/* (d1,vc1,d0,vc0)=(7,0,7,0) */
buffer_load_ubyte v240, v12, s[sgprSrdC:sgprSrdC+3], 0, offen offset:224,  sc0 sc1 // load C for beta calc
/* (d1,vc1,d0,vc0)=(7,1,0,0) */
s_lshl_b32  s34, s[sgprStrideC1J], 0               // incToNextRow: Scale by BPE
s_add_u32  s[sgprSrdC+0], s[sgprSrdC+0], s34       // incToNextRow: gra SRD += inc(lower)
s_addc_u32  s[sgprSrdC+1], s[sgprSrdC+1], 0        // incToNextRow: gra SRD += inc(upper)
buffer_load_ubyte v242, v12, s[sgprSrdC:sgprSrdC+3], 0, offen offset:0,  sc0 sc1 // load C for beta calc
/* (d1,vc1,d0,vc0)=(7,1,1,0) */
buffer_load_ubyte v244, v12, s[sgprSrdC:sgprSrdC+3], 0, offen offset:32,  sc0 sc1 // load C for beta calc
/* (d1,vc1,d0,vc0)=(7,1,2,0) */
	;; [unrolled: 2-line block ×5, first 2 shown]
buffer_load_ubyte v252, v12, s[sgprSrdC:sgprSrdC+3], 0, offen offset:160,  sc0 sc1 // load C for beta calc
s_sleep 3 // optimization: sync and wait
s_barrier
v_accvgpr_read_b32 v[vgprValuC+14], acc126 // copy acc to vreg[119]
v_accvgpr_read_b32 v[vgprValuC+16], acc15 // copy acc to vreg[120]
v_accvgpr_read_b32 v[vgprValuC+18], acc31 // copy acc to vreg[121]
v_accvgpr_read_b32 v[vgprValuC+20], acc47 // copy acc to vreg[122]
v_accvgpr_read_b32 v[vgprValuC+22], acc63 // copy acc to vreg[123]
v_accvgpr_read_b32 v[vgprValuC+24], acc79 // copy acc to vreg[124]
v_accvgpr_read_b32 v[vgprValuC+26], acc95 // copy acc to vreg[125]
v_accvgpr_read_b32 v[vgprValuC+28], acc111 // copy acc to vreg[126]
v_accvgpr_read_b32 v[vgprValuC+30], acc127 // copy acc to vreg[127]
v_accvgpr_read_b32 v[vgprValuC+32], acc128 // copy acc to vreg[128]
v_accvgpr_read_b32 v[vgprValuC+34], acc144 // copy acc to vreg[129]
v_accvgpr_read_b32 v[vgprValuC+36], acc160 // copy acc to vreg[130]
v_accvgpr_read_b32 v[vgprValuC+38], acc176 // copy acc to vreg[131]
v_accvgpr_read_b32 v[vgprValuC+40], acc192 // copy acc to vreg[132]
v_accvgpr_read_b32 v[vgprValuC+42], acc208 // copy acc to vreg[133]
v_accvgpr_read_b32 v[vgprValuC+44], acc224 // copy acc to vreg[134]
v_accvgpr_read_b32 v[vgprValuC+46], acc240 // copy acc to vreg[135]
v_accvgpr_read_b32 v[vgprValuC+48], acc129 // copy acc to vreg[136]
v_accvgpr_read_b32 v[vgprValuC+50], acc145 // copy acc to vreg[137]
v_accvgpr_read_b32 v[vgprValuC+52], acc161 // copy acc to vreg[138]
v_accvgpr_read_b32 v[vgprValuC+54], acc177 // copy acc to vreg[139]
v_accvgpr_read_b32 v[vgprValuC+56], acc193 // copy acc to vreg[140]
v_accvgpr_read_b32 v[vgprValuC+58], acc209 // copy acc to vreg[141]
v_accvgpr_read_b32 v[vgprValuC+60], acc225 // copy acc to vreg[142]
v_accvgpr_read_b32 v[vgprValuC+62], acc241 // copy acc to vreg[143]
v_accvgpr_read_b32 v[vgprValuC+64], acc130 // copy acc to vreg[144]
v_accvgpr_read_b32 v[vgprValuC+66], acc146 // copy acc to vreg[145]
v_accvgpr_read_b32 v[vgprValuC+68], acc162 // copy acc to vreg[146]
v_accvgpr_read_b32 v[vgprValuC+70], acc178 // copy acc to vreg[147]
v_accvgpr_read_b32 v[vgprValuC+72], acc194 // copy acc to vreg[148]
v_accvgpr_read_b32 v[vgprValuC+74], acc210 // copy acc to vreg[149]
v_accvgpr_read_b32 v[vgprValuC+76], acc226 // copy acc to vreg[150]
v_accvgpr_read_b32 v[vgprValuC+78], acc242 // copy acc to vreg[151]
v_accvgpr_read_b32 v[vgprValuC+80], acc131 // copy acc to vreg[152]
v_accvgpr_read_b32 v[vgprValuC+82], acc147 // copy acc to vreg[153]
v_accvgpr_read_b32 v[vgprValuC+84], acc163 // copy acc to vreg[154]
v_accvgpr_read_b32 v[vgprValuC+86], acc179 // copy acc to vreg[155]
v_accvgpr_read_b32 v[vgprValuC+88], acc195 // copy acc to vreg[156]
v_accvgpr_read_b32 v[vgprValuC+90], acc211 // copy acc to vreg[157]
v_accvgpr_read_b32 v[vgprValuC+92], acc227 // copy acc to vreg[158]
v_accvgpr_read_b32 v[vgprValuC+94], acc243 // copy acc to vreg[159]
v_accvgpr_read_b32 v[vgprValuC+96], acc132 // copy acc to vreg[160]
v_accvgpr_read_b32 v[vgprValuC+98], acc148 // copy acc to vreg[161]
v_accvgpr_read_b32 v[vgprValuC+100], acc164 // copy acc to vreg[162]
v_accvgpr_read_b32 v[vgprValuC+102], acc180 // copy acc to vreg[163]
v_accvgpr_read_b32 v[vgprValuC+104], acc196 // copy acc to vreg[164]
v_accvgpr_read_b32 v[vgprValuC+106], acc212 // copy acc to vreg[165]
v_accvgpr_read_b32 v[vgprValuC+108], acc228 // copy acc to vreg[166]
v_accvgpr_read_b32 v[vgprValuC+110], acc244 // copy acc to vreg[167]
v_accvgpr_read_b32 v[vgprValuC+112], acc133 // copy acc to vreg[168]
v_accvgpr_read_b32 v[vgprValuC+114], acc149 // copy acc to vreg[169]
v_accvgpr_read_b32 v[vgprValuC+119], acc165 // copy acc to vreg[170]
v_accvgpr_read_b32 v[vgprValuC+121], acc181 // copy acc to vreg[171]
v_accvgpr_read_b32 v[vgprValuC+123], acc197 // copy acc to vreg[172]
v_accvgpr_read_b32 v[vgprValuC+125], acc213 // copy acc to vreg[173]
v_accvgpr_read_b32 v[vgprValuC+127], acc229 // copy acc to vreg[174]
v_accvgpr_read_b32 v[vgprValuC+129], acc245 // copy acc to vreg[175]
v_accvgpr_read_b32 v[vgprValuC+131], acc134 // copy acc to vreg[176]
v_accvgpr_read_b32 v[vgprValuC+133], acc150 // copy acc to vreg[177]
v_accvgpr_read_b32 v[vgprValuC+135], acc166 // copy acc to vreg[178]
v_accvgpr_read_b32 v[vgprValuC+137], acc182 // copy acc to vreg[179]
v_accvgpr_read_b32 v[vgprValuC+139], acc198 // copy acc to vreg[180]
v_accvgpr_read_b32 v[vgprValuC+141], acc214 // copy acc to vreg[181]
v_accvgpr_read_b32 v[vgprValuC+143], acc230 // copy acc to vreg[182]
v_accvgpr_read_b32 v[vgprValuC+145], acc246 // copy acc to vreg[183]
v_accvgpr_read_b32 v[vgprValuC+147], acc135 // copy acc to vreg[184]
v_accvgpr_read_b32 v[vgprValuC+149], acc151 // copy acc to vreg[185]
v_accvgpr_read_b32 v[vgprValuC+151], acc167 // copy acc to vreg[186]
v_accvgpr_read_b32 v[vgprValuC+153], acc183 // copy acc to vreg[187]
v_accvgpr_read_b32 v[vgprValuC+155], acc199 // copy acc to vreg[188]
v_accvgpr_read_b32 v[vgprValuC+157], acc215 // copy acc to vreg[189]
v_accvgpr_read_b32 v[vgprValuC+159], acc231 // copy acc to vreg[190]
v_accvgpr_read_b32 v[vgprValuC+161], acc247 // copy acc to vreg[191]
v_accvgpr_read_b32 v[vgprValuC+163], acc136 // copy acc to vreg[192]
v_accvgpr_read_b32 v[vgprValuC+165], acc152 // copy acc to vreg[193]
v_accvgpr_read_b32 v[vgprValuC+167], acc168 // copy acc to vreg[194]
v_accvgpr_read_b32 v[vgprValuC+169], acc184 // copy acc to vreg[195]
v_accvgpr_read_b32 v[vgprValuC+171], acc200 // copy acc to vreg[196]
v_accvgpr_read_b32 v[vgprValuC+173], acc216 // copy acc to vreg[197]
v_accvgpr_read_b32 v[vgprValuC+175], acc232 // copy acc to vreg[198]
v_accvgpr_read_b32 v[vgprValuC+177], acc248 // copy acc to vreg[199]
v_accvgpr_read_b32 v[vgprValuC+179], acc137 // copy acc to vreg[200]
v_accvgpr_read_b32 v[vgprValuC+181], acc153 // copy acc to vreg[201]
v_accvgpr_read_b32 v[vgprValuC+183], acc169 // copy acc to vreg[202]
v_accvgpr_read_b32 v[vgprValuC+185], acc185 // copy acc to vreg[203]
v_accvgpr_read_b32 v[vgprValuC+187], acc201 // copy acc to vreg[204]
v_accvgpr_read_b32 v[vgprValuC+189], acc217 // copy acc to vreg[205]
v_accvgpr_read_b32 v[vgprValuC+191], acc233 // copy acc to vreg[206]
v_accvgpr_read_b32 v[vgprValuC+193], acc249 // copy acc to vreg[207]
v_accvgpr_read_b32 v[vgprValuC+195], acc138 // copy acc to vreg[208]
v_accvgpr_read_b32 v[vgprValuC+197], acc154 // copy acc to vreg[209]
v_accvgpr_read_b32 v[vgprValuC+199], acc170 // copy acc to vreg[210]
v_accvgpr_read_b32 v[vgprValuC+201], acc186 // copy acc to vreg[211]
v_accvgpr_read_b32 v[vgprValuC+203], acc202 // copy acc to vreg[212]
v_accvgpr_read_b32 v[vgprValuC+205], acc218 // copy acc to vreg[213]
v_accvgpr_read_b32 v[vgprValuC+207], acc234 // copy acc to vreg[214]
v_accvgpr_read_b32 v[vgprValuC+209], acc250 // copy acc to vreg[215]
v_accvgpr_read_b32 v[vgprValuC+211], acc139 // copy acc to vreg[216]
v_accvgpr_read_b32 v[vgprValuC+213], acc155 // copy acc to vreg[217]
v_accvgpr_read_b32 v[vgprValuC+215], acc171 // copy acc to vreg[218]
v_accvgpr_read_b32 v[vgprValuC+217], acc187 // copy acc to vreg[219]
v_accvgpr_read_b32 v[vgprValuC+219], acc203 // copy acc to vreg[220]
v_accvgpr_read_b32 v[vgprValuC+221], acc219 // copy acc to vreg[221]
v_accvgpr_read_b32 v[vgprValuC+223], acc235 // copy acc to vreg[222]
v_accvgpr_read_b32 v[vgprValuC+225], acc251 // copy acc to vreg[223]
v_accvgpr_read_b32 v[vgprValuC+227], acc140 // copy acc to vreg[224]
v_accvgpr_read_b32 v[vgprValuC+229], acc156 // copy acc to vreg[225]
v_accvgpr_read_b32 v[vgprValuC+231], acc172 // copy acc to vreg[226]
v_accvgpr_read_b32 v[vgprValuC+233], acc188 // copy acc to vreg[227]
v_accvgpr_read_b32 v[vgprValuC+235], acc204 // copy acc to vreg[228]
v_accvgpr_read_b32 v[vgprValuC+237], acc220 // copy acc to vreg[229]
v_accvgpr_read_b32 v[vgprValuC+239], acc236 // copy acc to vreg[230]
v_accvgpr_read_b32 v[vgprValuC+241], acc252 // copy acc to vreg[231]
v_accvgpr_read_b32 v[vgprValuC+243], acc141 // copy acc to vreg[232]
v_accvgpr_read_b32 v[vgprValuC+245], acc157 // copy acc to vreg[233]
v_accvgpr_read_b32 v[vgprValuC+247], acc173 // copy acc to vreg[234]
v_accvgpr_read_b32 v[vgprValuC+249], acc189 // copy acc to vreg[235]
v_accvgpr_read_b32 v[vgprValuC+251], acc205 // copy acc to vreg[236]
v_accvgpr_read_b32 v[vgprValuC+253], acc221 // copy acc to vreg[237]
s_nop 1                                            // 2 wait states required before reading vgpr

/* rC *= alpha batchElements=[(3, 7, 2, 0), (3, 0, 3, 0), (3, 1, 3, 0), (3, 2, 3, 0), (3, 3, 3, 0), (3, 4, 3, 0), (3, 5, 3, 0), (3, 6, 3, 0), (3, 7, 3, 0), (4, 0, 0, 0), (4, 1, 0, 0), (4, 2, 0, 0), (4, 3, 0, 0), (4, 4, 0, 0), (4, 5, 0, 0), (4, 6, 0, 0), (4, 7, 0, 0), (4, 0, 1, 0), (4, 1, 1, 0), (4, 2, 1, 0), (4, 3, 1, 0), (4, 4, 1, 0), (4, 5, 1, 0), (4, 6, 1, 0), (4, 7, 1, 0), (4, 0, 2, 0), (4, 1, 2, 0), (4, 2, 2, 0), (4, 3, 2, 0), (4, 4, 2, 0), (4, 5, 2, 0), (4, 6, 2, 0), (4, 7, 2, 0), (4, 0, 3, 0), (4, 1, 3, 0), (4, 2, 3, 0), (4, 3, 3, 0), (4, 4, 3, 0), (4, 5, 3, 0), (4, 6, 3, 0), (4, 7, 3, 0), (5, 0, 0, 0), (5, 1, 0, 0), (5, 2, 0, 0), (5, 3, 0, 0), (5, 4, 0, 0), (5, 5, 0, 0), (5, 6, 0, 0), (5, 7, 0, 0), (5, 0, 1, 0), (5, 1, 1, 0), (5, 2, 1, 0), (5, 3, 1, 0), (5, 4, 1, 0), (5, 5, 1, 0), (5, 6, 1, 0), (5, 7, 1, 0), (5, 0, 2, 0), (5, 1, 2, 0), (5, 2, 2, 0), (5, 3, 2, 0), (5, 4, 2, 0), (5, 5, 2, 0), (5, 6, 2, 0), (5, 7, 2, 0), (5, 0, 3, 0), (5, 1, 3, 0), (5, 2, 3, 0), (5, 3, 3, 0), (5, 4, 3, 0), (5, 5, 3, 0), (5, 6, 3, 0), (5, 7, 3, 0), (6, 0, 0, 0), (6, 1, 0, 0), (6, 2, 0, 0), (6, 3, 0, 0), (6, 4, 0, 0), (6, 5, 0, 0), (6, 6, 0, 0), (6, 7, 0, 0), (6, 0, 1, 0), (6, 1, 1, 0), (6, 2, 1, 0), (6, 3, 1, 0), (6, 4, 1, 0), (6, 5, 1, 0), (6, 6, 1, 0), (6, 7, 1, 0), (6, 0, 2, 0), (6, 1, 2, 0), (6, 2, 2, 0), (6, 3, 2, 0), (6, 4, 2, 0), (6, 5, 2, 0), (6, 6, 2, 0), (6, 7, 2, 0), (6, 0, 3, 0), (6, 1, 3, 0), (6, 2, 3, 0), (6, 3, 3, 0), (6, 4, 3, 0), (6, 5, 3, 0), (6, 6, 3, 0), (6, 7, 3, 0), (7, 0, 0, 0), (7, 1, 0, 0), (7, 2, 0, 0), (7, 3, 0, 0), (7, 4, 0, 0), (7, 5, 0, 0), (7, 6, 0, 0), (7, 7, 0, 0), (7, 0, 1, 0), (7, 1, 1, 0), (7, 2, 1, 0), (7, 3, 1, 0), (7, 4, 1, 0), (7, 5, 1, 0)] */
v_mul_f32 v[vgprValuC+14], s[sgprAlpha], v[vgprValuC+14] // *= alpha
v_mul_f32 v[vgprValuC+16], s[sgprAlpha], v[vgprValuC+16] // *= alpha
	;; [unrolled: 1-line block ×119, first 2 shown]

/* apply mask, calc new C and issue writes */
v_mov_b32 v10, 0x207                               // flag for Nan and +/- inf
v_mov_b32 v8, 0x47600000                           // save 57344.0f as max for clipping
v_mov_b32 v9, 0xC7600000                           // save -57344`.0f as min for clipping

s_waitcnt vmcnt(63)                                // wait C (interleaved) 118 = 119 - 0 + 0 - 1
v_cvt_f32_bf8 v6, v13 src0_sel:BYTE_0   // convert bf8 in lo_byte[0] to f32
_v_mac_f32 v[vgprValuC+14], v6, s[sgprBeta]        // finalSum = sum*alpha + C*beta
v_cmp_class_f32 s[34:35], v[vgprValuC+14], v10     // check NaN and +/-INF
v_med3_f32 v6, v[vgprValuC+14], v8, v9             // Clipping f32 value if exceeds the limit
v_cndmask_b32 v6, v6, v[vgprValuC+14], s[34:35]    // 
v_cvt_pk_bf8_f32  v14, v6, v6                      // convert f32 accumulated values to fp8
buffer_store_byte v14, v11, s[sgprSrdD:sgprSrdD+3], 0, offen, offset:224,  sc0 sc1 // store D

s_waitcnt vmcnt(63)                                // wait C (interleaved) 118 = 119 - 1 + 1 - 1
v_cvt_f32_bf8 v6, v15 src0_sel:BYTE_0   // convert bf8 in lo_byte[0] to f32
_v_mac_f32 v[vgprValuC+16], v6, s[sgprBeta]        // finalSum = sum*alpha + C*beta
v_cmp_class_f32 s[34:35], v[vgprValuC+16], v10     // check NaN and +/-INF
v_med3_f32 v6, v[vgprValuC+16], v8, v9             // Clipping f32 value if exceeds the limit
v_cndmask_b32 v6, v6, v[vgprValuC+16], s[34:35]    // 
v_cvt_pk_bf8_f32  v16, v6, v6                      // convert f32 accumulated values to fp8
s_lshl_b32  s34, s[sgprStrideD1J], 0               // incToNextRow: Scale by BPE
s_add_u32  s[sgprSrdD+0], s[sgprSrdD+0], s34       // incToNextRow: gra SRD += inc(lower)
s_addc_u32  s[sgprSrdD+1], s[sgprSrdD+1], 0        // incToNextRow: gra SRD += inc(upper)
buffer_store_byte v16, v11, s[sgprSrdD:sgprSrdD+3], 0, offen, offset:0,  sc0 sc1 // store D

s_waitcnt vmcnt(63)                                // wait C (interleaved) 118 = 119 - 2 + 2 - 1
v_cvt_f32_bf8 v6, v17 src0_sel:BYTE_0   // convert bf8 in lo_byte[0] to f32
_v_mac_f32 v[vgprValuC+18], v6, s[sgprBeta]        // finalSum = sum*alpha + C*beta
v_cmp_class_f32 s[34:35], v[vgprValuC+18], v10     // check NaN and +/-INF
v_med3_f32 v6, v[vgprValuC+18], v8, v9             // Clipping f32 value if exceeds the limit
v_cndmask_b32 v6, v6, v[vgprValuC+18], s[34:35]    // 
v_cvt_pk_bf8_f32  v18, v6, v6                      // convert f32 accumulated values to fp8
buffer_store_byte v18, v11, s[sgprSrdD:sgprSrdD+3], 0, offen, offset:32,  sc0 sc1 // store D

s_waitcnt vmcnt(63)                                // wait C (interleaved) 118 = 119 - 3 + 3 - 1
v_cvt_f32_bf8 v6, v19 src0_sel:BYTE_0   // convert bf8 in lo_byte[0] to f32
_v_mac_f32 v[vgprValuC+20], v6, s[sgprBeta]        // finalSum = sum*alpha + C*beta
v_cmp_class_f32 s[34:35], v[vgprValuC+20], v10     // check NaN and +/-INF
v_med3_f32 v6, v[vgprValuC+20], v8, v9             // Clipping f32 value if exceeds the limit
v_cndmask_b32 v6, v6, v[vgprValuC+20], s[34:35]    // 
v_cvt_pk_bf8_f32  v20, v6, v6                      // convert f32 accumulated values to fp8
	;; [unrolled: 9-line block ×8, first 2 shown]
s_mul_i32 s34, s[sgprStrideD1J], 101               // scale StrideD *= numRows(101) * bpe
s_add_u32  s[sgprSrdD+0], s[sgprSrdD+0], s34       // incToNextRow: gra SRD += inc(lower)
s_addc_u32  s[sgprSrdD+1], s[sgprSrdD+1], 0        // incToNextRow: gra SRD += inc(upper)
buffer_store_byte v32, v11, s[sgprSrdD:sgprSrdD+3], 0, offen, offset:0,  sc0 sc1 // store D

s_waitcnt vmcnt(63)                                // wait C (interleaved) 118 = 119 - 10 + 10 - 1
v_cvt_f32_bf8 v6, v33 src0_sel:BYTE_0   // convert bf8 in lo_byte[0] to f32
_v_mac_f32 v[vgprValuC+34], v6, s[sgprBeta]        // finalSum = sum*alpha + C*beta
v_cmp_class_f32 s[34:35], v[vgprValuC+34], v10     // check NaN and +/-INF
v_med3_f32 v6, v[vgprValuC+34], v8, v9             // Clipping f32 value if exceeds the limit
v_cndmask_b32 v6, v6, v[vgprValuC+34], s[34:35]    // 
v_cvt_pk_bf8_f32  v34, v6, v6                      // convert f32 accumulated values to fp8
buffer_store_byte v34, v11, s[sgprSrdD:sgprSrdD+3], 0, offen, offset:32,  sc0 sc1 // store D

s_waitcnt vmcnt(63)                                // wait C (interleaved) 118 = 119 - 11 + 11 - 1
v_cvt_f32_bf8 v6, v35 src0_sel:BYTE_0   // convert bf8 in lo_byte[0] to f32
_v_mac_f32 v[vgprValuC+36], v6, s[sgprBeta]        // finalSum = sum*alpha + C*beta
v_cmp_class_f32 s[34:35], v[vgprValuC+36], v10     // check NaN and +/-INF
v_med3_f32 v6, v[vgprValuC+36], v8, v9             // Clipping f32 value if exceeds the limit
v_cndmask_b32 v6, v6, v[vgprValuC+36], s[34:35]    // 
v_cvt_pk_bf8_f32  v36, v6, v6                      // convert f32 accumulated values to fp8
	;; [unrolled: 9-line block ×8, first 2 shown]
s_lshl_b32  s34, s[sgprStrideD1J], 0               // incToNextRow: Scale by BPE
s_add_u32  s[sgprSrdD+0], s[sgprSrdD+0], s34       // incToNextRow: gra SRD += inc(lower)
s_addc_u32  s[sgprSrdD+1], s[sgprSrdD+1], 0        // incToNextRow: gra SRD += inc(upper)
buffer_store_byte v48, v11, s[sgprSrdD:sgprSrdD+3], 0, offen, offset:0,  sc0 sc1 // store D

s_waitcnt vmcnt(63)                                // wait C (interleaved) 118 = 119 - 18 + 18 - 1
v_cvt_f32_bf8 v6, v49 src0_sel:BYTE_0   // convert bf8 in lo_byte[0] to f32
_v_mac_f32 v[vgprValuC+50], v6, s[sgprBeta]        // finalSum = sum*alpha + C*beta
v_cmp_class_f32 s[34:35], v[vgprValuC+50], v10     // check NaN and +/-INF
v_med3_f32 v6, v[vgprValuC+50], v8, v9             // Clipping f32 value if exceeds the limit
v_cndmask_b32 v6, v6, v[vgprValuC+50], s[34:35]    // 
v_cvt_pk_bf8_f32  v50, v6, v6                      // convert f32 accumulated values to fp8
buffer_store_byte v50, v11, s[sgprSrdD:sgprSrdD+3], 0, offen, offset:32,  sc0 sc1 // store D

s_waitcnt vmcnt(63)                                // wait C (interleaved) 118 = 119 - 19 + 19 - 1
v_cvt_f32_bf8 v6, v51 src0_sel:BYTE_0   // convert bf8 in lo_byte[0] to f32
_v_mac_f32 v[vgprValuC+52], v6, s[sgprBeta]        // finalSum = sum*alpha + C*beta
v_cmp_class_f32 s[34:35], v[vgprValuC+52], v10     // check NaN and +/-INF
v_med3_f32 v6, v[vgprValuC+52], v8, v9             // Clipping f32 value if exceeds the limit
v_cndmask_b32 v6, v6, v[vgprValuC+52], s[34:35]    // 
v_cvt_pk_bf8_f32  v52, v6, v6                      // convert f32 accumulated values to fp8
buffer_store_byte v52, v11, s[sgprSrdD:sgprSrdD+3], 0, offen, offset:64,  sc0 sc1 // store D

s_waitcnt vmcnt(63)                                // wait C (interleaved) 118 = 119 - 20 + 20 - 1
v_cvt_f32_bf8 v6, v53 src0_sel:BYTE_0   // convert bf8 in lo_byte[0] to f32
_v_mac_f32 v[vgprValuC+54], v6, s[sgprBeta]        // finalSum = sum*alpha + C*beta
v_cmp_class_f32 s[34:35], v[vgprValuC+54], v10     // check NaN and +/-INF
v_med3_f32 v6, v[vgprValuC+54], v8, v9             // Clipping f32 value if exceeds the limit
v_cndmask_b32 v6, v6, v[vgprValuC+54], s[34:35]    // 
v_cvt_pk_bf8_f32  v54, v6, v6                      // convert f32 accumulated values to fp8
buffer_store_byte v54, v11, s[sgprSrdD:sgprSrdD+3], 0, offen, offset:96,  sc0 sc1 // store D

s_waitcnt vmcnt(63)                                // wait C (interleaved) 118 = 119 - 21 + 21 - 1
v_cvt_f32_bf8 v6, v55 src0_sel:BYTE_0   // convert bf8 in lo_byte[0] to f32
_v_mac_f32 v[vgprValuC+56], v6, s[sgprBeta]        // finalSum = sum*alpha + C*beta
v_cmp_class_f32 s[34:35], v[vgprValuC+56], v10     // check NaN and +/-INF
v_med3_f32 v6, v[vgprValuC+56], v8, v9             // Clipping f32 value if exceeds the limit
v_cndmask_b32 v6, v6, v[vgprValuC+56], s[34:35]    // 
v_cvt_pk_bf8_f32  v56, v6, v6                      // convert f32 accumulated values to fp8
buffer_store_byte v56, v11, s[sgprSrdD:sgprSrdD+3], 0, offen, offset:128,  sc0 sc1 // store D

s_waitcnt vmcnt(63)                                // wait C (interleaved) 118 = 119 - 22 + 22 - 1
v_cvt_f32_bf8 v6, v57 src0_sel:BYTE_0   // convert bf8 in lo_byte[0] to f32
_v_mac_f32 v[vgprValuC+58], v6, s[sgprBeta]        // finalSum = sum*alpha + C*beta
v_cmp_class_f32 s[34:35], v[vgprValuC+58], v10     // check NaN and +/-INF
v_med3_f32 v6, v[vgprValuC+58], v8, v9             // Clipping f32 value if exceeds the limit
v_cndmask_b32 v6, v6, v[vgprValuC+58], s[34:35]    // 
v_cvt_pk_bf8_f32  v58, v6, v6                      // convert f32 accumulated values to fp8
buffer_store_byte v58, v11, s[sgprSrdD:sgprSrdD+3], 0, offen, offset:160,  sc0 sc1 // store D

s_waitcnt vmcnt(63)                                // wait C (interleaved) 118 = 119 - 23 + 23 - 1
v_cvt_f32_bf8 v6, v59 src0_sel:BYTE_0   // convert bf8 in lo_byte[0] to f32
_v_mac_f32 v[vgprValuC+60], v6, s[sgprBeta]        // finalSum = sum*alpha + C*beta
v_cmp_class_f32 s[34:35], v[vgprValuC+60], v10     // check NaN and +/-INF
v_med3_f32 v6, v[vgprValuC+60], v8, v9             // Clipping f32 value if exceeds the limit
v_cndmask_b32 v6, v6, v[vgprValuC+60], s[34:35]    // 
v_cvt_pk_bf8_f32  v60, v6, v6                      // convert f32 accumulated values to fp8
buffer_store_byte v60, v11, s[sgprSrdD:sgprSrdD+3], 0, offen, offset:192,  sc0 sc1 // store D

s_waitcnt vmcnt(63)                                // wait C (interleaved) 118 = 119 - 24 + 24 - 1
v_cvt_f32_bf8 v6, v61 src0_sel:BYTE_0   // convert bf8 in lo_byte[0] to f32
_v_mac_f32 v[vgprValuC+62], v6, s[sgprBeta]        // finalSum = sum*alpha + C*beta
v_cmp_class_f32 s[34:35], v[vgprValuC+62], v10     // check NaN and +/-INF
v_med3_f32 v6, v[vgprValuC+62], v8, v9             // Clipping f32 value if exceeds the limit
v_cndmask_b32 v6, v6, v[vgprValuC+62], s[34:35]    // 
v_cvt_pk_bf8_f32  v62, v6, v6                      // convert f32 accumulated values to fp8
buffer_store_byte v62, v11, s[sgprSrdD:sgprSrdD+3], 0, offen, offset:224,  sc0 sc1 // store D

s_waitcnt vmcnt(63)                                // wait C (interleaved) 118 = 119 - 25 + 25 - 1
v_cvt_f32_bf8 v6, v63 src0_sel:BYTE_0   // convert bf8 in lo_byte[0] to f32
_v_mac_f32 v[vgprValuC+64], v6, s[sgprBeta]        // finalSum = sum*alpha + C*beta
v_cmp_class_f32 s[34:35], v[vgprValuC+64], v10     // check NaN and +/-INF
v_med3_f32 v6, v[vgprValuC+64], v8, v9             // Clipping f32 value if exceeds the limit
v_cndmask_b32 v6, v6, v[vgprValuC+64], s[34:35]    // 
v_cvt_pk_bf8_f32  v64, v6, v6                      // convert f32 accumulated values to fp8
s_lshl_b32  s34, s[sgprStrideD1J], 0               // incToNextRow: Scale by BPE
s_add_u32  s[sgprSrdD+0], s[sgprSrdD+0], s34       // incToNextRow: gra SRD += inc(lower)
s_addc_u32  s[sgprSrdD+1], s[sgprSrdD+1], 0        // incToNextRow: gra SRD += inc(upper)
buffer_store_byte v64, v11, s[sgprSrdD:sgprSrdD+3], 0, offen, offset:0,  sc0 sc1 // store D

s_waitcnt vmcnt(63)                                // wait C (interleaved) 118 = 119 - 26 + 26 - 1
v_cvt_f32_bf8 v6, v65 src0_sel:BYTE_0   // convert bf8 in lo_byte[0] to f32
_v_mac_f32 v[vgprValuC+66], v6, s[sgprBeta]        // finalSum = sum*alpha + C*beta
v_cmp_class_f32 s[34:35], v[vgprValuC+66], v10     // check NaN and +/-INF
v_med3_f32 v6, v[vgprValuC+66], v8, v9             // Clipping f32 value if exceeds the limit
v_cndmask_b32 v6, v6, v[vgprValuC+66], s[34:35]    // 
v_cvt_pk_bf8_f32  v66, v6, v6                      // convert f32 accumulated values to fp8
buffer_store_byte v66, v11, s[sgprSrdD:sgprSrdD+3], 0, offen, offset:32,  sc0 sc1 // store D

s_waitcnt vmcnt(63)                                // wait C (interleaved) 118 = 119 - 27 + 27 - 1
v_cvt_f32_bf8 v6, v67 src0_sel:BYTE_0   // convert bf8 in lo_byte[0] to f32
_v_mac_f32 v[vgprValuC+68], v6, s[sgprBeta]        // finalSum = sum*alpha + C*beta
v_cmp_class_f32 s[34:35], v[vgprValuC+68], v10     // check NaN and +/-INF
v_med3_f32 v6, v[vgprValuC+68], v8, v9             // Clipping f32 value if exceeds the limit
v_cndmask_b32 v6, v6, v[vgprValuC+68], s[34:35]    // 
v_cvt_pk_bf8_f32  v68, v6, v6                      // convert f32 accumulated values to fp8
	;; [unrolled: 9-line block ×8, first 2 shown]
s_lshl_b32  s34, s[sgprStrideD1J], 0               // incToNextRow: Scale by BPE
s_add_u32  s[sgprSrdD+0], s[sgprSrdD+0], s34       // incToNextRow: gra SRD += inc(lower)
s_addc_u32  s[sgprSrdD+1], s[sgprSrdD+1], 0        // incToNextRow: gra SRD += inc(upper)
buffer_store_byte v80, v11, s[sgprSrdD:sgprSrdD+3], 0, offen, offset:0,  sc0 sc1 // store D

s_waitcnt vmcnt(63)                                // wait C (interleaved) 118 = 119 - 34 + 34 - 1
v_cvt_f32_bf8 v6, v81 src0_sel:BYTE_0   // convert bf8 in lo_byte[0] to f32
_v_mac_f32 v[vgprValuC+82], v6, s[sgprBeta]        // finalSum = sum*alpha + C*beta
v_cmp_class_f32 s[34:35], v[vgprValuC+82], v10     // check NaN and +/-INF
v_med3_f32 v6, v[vgprValuC+82], v8, v9             // Clipping f32 value if exceeds the limit
v_cndmask_b32 v6, v6, v[vgprValuC+82], s[34:35]    // 
v_cvt_pk_bf8_f32  v82, v6, v6                      // convert f32 accumulated values to fp8
buffer_store_byte v82, v11, s[sgprSrdD:sgprSrdD+3], 0, offen, offset:32,  sc0 sc1 // store D

s_waitcnt vmcnt(63)                                // wait C (interleaved) 118 = 119 - 35 + 35 - 1
v_cvt_f32_bf8 v6, v83 src0_sel:BYTE_0   // convert bf8 in lo_byte[0] to f32
_v_mac_f32 v[vgprValuC+84], v6, s[sgprBeta]        // finalSum = sum*alpha + C*beta
v_cmp_class_f32 s[34:35], v[vgprValuC+84], v10     // check NaN and +/-INF
v_med3_f32 v6, v[vgprValuC+84], v8, v9             // Clipping f32 value if exceeds the limit
v_cndmask_b32 v6, v6, v[vgprValuC+84], s[34:35]    // 
v_cvt_pk_bf8_f32  v84, v6, v6                      // convert f32 accumulated values to fp8
	;; [unrolled: 9-line block ×8, first 2 shown]
s_mul_i32 s34, s[sgprStrideD1J], 5                 // scale StrideD *= numRows(5) * bpe
s_add_u32  s[sgprSrdD+0], s[sgprSrdD+0], s34       // incToNextRow: gra SRD += inc(lower)
s_addc_u32  s[sgprSrdD+1], s[sgprSrdD+1], 0        // incToNextRow: gra SRD += inc(upper)
buffer_store_byte v96, v11, s[sgprSrdD:sgprSrdD+3], 0, offen, offset:0,  sc0 sc1 // store D

s_waitcnt vmcnt(63)                                // wait C (interleaved) 118 = 119 - 42 + 42 - 1
v_cvt_f32_bf8 v6, v97 src0_sel:BYTE_0   // convert bf8 in lo_byte[0] to f32
_v_mac_f32 v[vgprValuC+98], v6, s[sgprBeta]        // finalSum = sum*alpha + C*beta
v_cmp_class_f32 s[34:35], v[vgprValuC+98], v10     // check NaN and +/-INF
v_med3_f32 v6, v[vgprValuC+98], v8, v9             // Clipping f32 value if exceeds the limit
v_cndmask_b32 v6, v6, v[vgprValuC+98], s[34:35]    // 
v_cvt_pk_bf8_f32  v98, v6, v6                      // convert f32 accumulated values to fp8
buffer_store_byte v98, v11, s[sgprSrdD:sgprSrdD+3], 0, offen, offset:32,  sc0 sc1 // store D

s_waitcnt vmcnt(63)                                // wait C (interleaved) 118 = 119 - 43 + 43 - 1
v_cvt_f32_bf8 v6, v99 src0_sel:BYTE_0   // convert bf8 in lo_byte[0] to f32
_v_mac_f32 v[vgprValuC+100], v6, s[sgprBeta]       // finalSum = sum*alpha + C*beta
v_cmp_class_f32 s[34:35], v[vgprValuC+100], v10    // check NaN and +/-INF
v_med3_f32 v6, v[vgprValuC+100], v8, v9            // Clipping f32 value if exceeds the limit
v_cndmask_b32 v6, v6, v[vgprValuC+100], s[34:35]   // 
v_cvt_pk_bf8_f32  v100, v6, v6                     // convert f32 accumulated values to fp8
buffer_store_byte v100, v11, s[sgprSrdD:sgprSrdD+3], 0, offen, offset:64,  sc0 sc1 // store D

s_waitcnt vmcnt(63)                                // wait C (interleaved) 118 = 119 - 44 + 44 - 1
v_cvt_f32_bf8 v6, v101 src0_sel:BYTE_0   // convert bf8 in lo_byte[0] to f32
_v_mac_f32 v[vgprValuC+102], v6, s[sgprBeta]       // finalSum = sum*alpha + C*beta
v_cmp_class_f32 s[34:35], v[vgprValuC+102], v10    // check NaN and +/-INF
v_med3_f32 v6, v[vgprValuC+102], v8, v9            // Clipping f32 value if exceeds the limit
v_cndmask_b32 v6, v6, v[vgprValuC+102], s[34:35]   // 
v_cvt_pk_bf8_f32  v102, v6, v6                     // convert f32 accumulated values to fp8
	;; [unrolled: 9-line block ×7, first 2 shown]
s_lshl_b32  s34, s[sgprStrideD1J], 0               // incToNextRow: Scale by BPE
s_add_u32  s[sgprSrdD+0], s[sgprSrdD+0], s34       // incToNextRow: gra SRD += inc(lower)
s_addc_u32  s[sgprSrdD+1], s[sgprSrdD+1], 0        // incToNextRow: gra SRD += inc(upper)
buffer_store_byte v112, v11, s[sgprSrdD:sgprSrdD+3], 0, offen, offset:0,  sc0 sc1 // store D

s_waitcnt vmcnt(63)                                // wait C (interleaved) 118 = 119 - 50 + 50 - 1
v_cvt_f32_bf8 v6, v113 src0_sel:BYTE_0   // convert bf8 in lo_byte[0] to f32
_v_mac_f32 v[vgprValuC+114], v6, s[sgprBeta]       // finalSum = sum*alpha + C*beta
v_cmp_class_f32 s[34:35], v[vgprValuC+114], v10    // check NaN and +/-INF
v_med3_f32 v6, v[vgprValuC+114], v8, v9            // Clipping f32 value if exceeds the limit
v_cndmask_b32 v6, v6, v[vgprValuC+114], s[34:35]   // 
v_cvt_pk_bf8_f32  v114, v6, v6                     // convert f32 accumulated values to fp8
buffer_store_byte v114, v11, s[sgprSrdD:sgprSrdD+3], 0, offen, offset:32,  sc0 sc1 // store D

s_waitcnt vmcnt(63)                                // wait C (interleaved) 118 = 119 - 51 + 51 - 1
v_cvt_f32_bf8 v6, v115 src0_sel:BYTE_0   // convert bf8 in lo_byte[0] to f32
_v_mac_f32 v[vgprValuC+119], v6, s[sgprBeta]       // finalSum = sum*alpha + C*beta
v_cmp_class_f32 s[34:35], v[vgprValuC+119], v10    // check NaN and +/-INF
v_med3_f32 v6, v[vgprValuC+119], v8, v9            // Clipping f32 value if exceeds the limit
v_cndmask_b32 v6, v6, v[vgprValuC+119], s[34:35]   // 
v_cvt_pk_bf8_f32  v119, v6, v6                     // convert f32 accumulated values to fp8
	;; [unrolled: 9-line block ×8, first 2 shown]
s_lshl_b32  s34, s[sgprStrideD1J], 0               // incToNextRow: Scale by BPE
s_add_u32  s[sgprSrdD+0], s[sgprSrdD+0], s34       // incToNextRow: gra SRD += inc(lower)
s_addc_u32  s[sgprSrdD+1], s[sgprSrdD+1], 0        // incToNextRow: gra SRD += inc(upper)
buffer_store_byte v131, v11, s[sgprSrdD:sgprSrdD+3], 0, offen, offset:0,  sc0 sc1 // store D

s_waitcnt vmcnt(63)                                // wait C (interleaved) 118 = 119 - 58 + 58 - 1
v_cvt_f32_bf8 v6, v132 src0_sel:BYTE_0   // convert bf8 in lo_byte[0] to f32
_v_mac_f32 v[vgprValuC+133], v6, s[sgprBeta]       // finalSum = sum*alpha + C*beta
v_cmp_class_f32 s[34:35], v[vgprValuC+133], v10    // check NaN and +/-INF
v_med3_f32 v6, v[vgprValuC+133], v8, v9            // Clipping f32 value if exceeds the limit
v_cndmask_b32 v6, v6, v[vgprValuC+133], s[34:35]   // 
v_cvt_pk_bf8_f32  v133, v6, v6                     // convert f32 accumulated values to fp8
buffer_store_byte v133, v11, s[sgprSrdD:sgprSrdD+3], 0, offen, offset:32,  sc0 sc1 // store D

s_waitcnt vmcnt(63)                                // wait C (interleaved) 118 = 119 - 59 + 59 - 1
v_cvt_f32_bf8 v6, v134 src0_sel:BYTE_0   // convert bf8 in lo_byte[0] to f32
_v_mac_f32 v[vgprValuC+135], v6, s[sgprBeta]       // finalSum = sum*alpha + C*beta
v_cmp_class_f32 s[34:35], v[vgprValuC+135], v10    // check NaN and +/-INF
v_med3_f32 v6, v[vgprValuC+135], v8, v9            // Clipping f32 value if exceeds the limit
v_cndmask_b32 v6, v6, v[vgprValuC+135], s[34:35]   // 
v_cvt_pk_bf8_f32  v135, v6, v6                     // convert f32 accumulated values to fp8
	;; [unrolled: 9-line block ×8, first 2 shown]
s_lshl_b32  s34, s[sgprStrideD1J], 0               // incToNextRow: Scale by BPE
s_add_u32  s[sgprSrdD+0], s[sgprSrdD+0], s34       // incToNextRow: gra SRD += inc(lower)
s_addc_u32  s[sgprSrdD+1], s[sgprSrdD+1], 0        // incToNextRow: gra SRD += inc(upper)
buffer_store_byte v147, v11, s[sgprSrdD:sgprSrdD+3], 0, offen, offset:0,  sc0 sc1 // store D

s_waitcnt vmcnt(63)                                // wait C (interleaved) 118 = 119 - 66 + 66 - 1
v_cvt_f32_bf8 v6, v148 src0_sel:BYTE_0   // convert bf8 in lo_byte[0] to f32
_v_mac_f32 v[vgprValuC+149], v6, s[sgprBeta]       // finalSum = sum*alpha + C*beta
v_cmp_class_f32 s[34:35], v[vgprValuC+149], v10    // check NaN and +/-INF
v_med3_f32 v6, v[vgprValuC+149], v8, v9            // Clipping f32 value if exceeds the limit
v_cndmask_b32 v6, v6, v[vgprValuC+149], s[34:35]   // 
v_cvt_pk_bf8_f32  v149, v6, v6                     // convert f32 accumulated values to fp8
buffer_store_byte v149, v11, s[sgprSrdD:sgprSrdD+3], 0, offen, offset:32,  sc0 sc1 // store D

s_waitcnt vmcnt(63)                                // wait C (interleaved) 118 = 119 - 67 + 67 - 1
v_cvt_f32_bf8 v6, v150 src0_sel:BYTE_0   // convert bf8 in lo_byte[0] to f32
_v_mac_f32 v[vgprValuC+151], v6, s[sgprBeta]       // finalSum = sum*alpha + C*beta
v_cmp_class_f32 s[34:35], v[vgprValuC+151], v10    // check NaN and +/-INF
v_med3_f32 v6, v[vgprValuC+151], v8, v9            // Clipping f32 value if exceeds the limit
v_cndmask_b32 v6, v6, v[vgprValuC+151], s[34:35]   // 
v_cvt_pk_bf8_f32  v151, v6, v6                     // convert f32 accumulated values to fp8
buffer_store_byte v151, v11, s[sgprSrdD:sgprSrdD+3], 0, offen, offset:64,  sc0 sc1 // store D

s_waitcnt vmcnt(63)                                // wait C (interleaved) 118 = 119 - 68 + 68 - 1
v_cvt_f32_bf8 v6, v152 src0_sel:BYTE_0   // convert bf8 in lo_byte[0] to f32
_v_mac_f32 v[vgprValuC+153], v6, s[sgprBeta]       // finalSum = sum*alpha + C*beta
v_cmp_class_f32 s[34:35], v[vgprValuC+153], v10    // check NaN and +/-INF
v_med3_f32 v6, v[vgprValuC+153], v8, v9            // Clipping f32 value if exceeds the limit
v_cndmask_b32 v6, v6, v[vgprValuC+153], s[34:35]   // 
v_cvt_pk_bf8_f32  v153, v6, v6                     // convert f32 accumulated values to fp8
buffer_store_byte v153, v11, s[sgprSrdD:sgprSrdD+3], 0, offen, offset:96,  sc0 sc1 // store D

s_waitcnt vmcnt(63)                                // wait C (interleaved) 118 = 119 - 69 + 69 - 1
v_cvt_f32_bf8 v6, v154 src0_sel:BYTE_0   // convert bf8 in lo_byte[0] to f32
_v_mac_f32 v[vgprValuC+155], v6, s[sgprBeta]       // finalSum = sum*alpha + C*beta
v_cmp_class_f32 s[34:35], v[vgprValuC+155], v10    // check NaN and +/-INF
v_med3_f32 v6, v[vgprValuC+155], v8, v9            // Clipping f32 value if exceeds the limit
v_cndmask_b32 v6, v6, v[vgprValuC+155], s[34:35]   // 
v_cvt_pk_bf8_f32  v155, v6, v6                     // convert f32 accumulated values to fp8
buffer_store_byte v155, v11, s[sgprSrdD:sgprSrdD+3], 0, offen, offset:128,  sc0 sc1 // store D

s_waitcnt vmcnt(63)                                // wait C (interleaved) 118 = 119 - 70 + 70 - 1
v_cvt_f32_bf8 v6, v156 src0_sel:BYTE_0   // convert bf8 in lo_byte[0] to f32
_v_mac_f32 v[vgprValuC+157], v6, s[sgprBeta]       // finalSum = sum*alpha + C*beta
v_cmp_class_f32 s[34:35], v[vgprValuC+157], v10    // check NaN and +/-INF
v_med3_f32 v6, v[vgprValuC+157], v8, v9            // Clipping f32 value if exceeds the limit
v_cndmask_b32 v6, v6, v[vgprValuC+157], s[34:35]   // 
v_cvt_pk_bf8_f32  v157, v6, v6                     // convert f32 accumulated values to fp8
buffer_store_byte v157, v11, s[sgprSrdD:sgprSrdD+3], 0, offen, offset:160,  sc0 sc1 // store D

s_waitcnt vmcnt(63)                                // wait C (interleaved) 118 = 119 - 71 + 71 - 1
v_cvt_f32_bf8 v6, v158 src0_sel:BYTE_0   // convert bf8 in lo_byte[0] to f32
_v_mac_f32 v[vgprValuC+159], v6, s[sgprBeta]       // finalSum = sum*alpha + C*beta
v_cmp_class_f32 s[34:35], v[vgprValuC+159], v10    // check NaN and +/-INF
v_med3_f32 v6, v[vgprValuC+159], v8, v9            // Clipping f32 value if exceeds the limit
v_cndmask_b32 v6, v6, v[vgprValuC+159], s[34:35]   // 
v_cvt_pk_bf8_f32  v159, v6, v6                     // convert f32 accumulated values to fp8
buffer_store_byte v159, v11, s[sgprSrdD:sgprSrdD+3], 0, offen, offset:192,  sc0 sc1 // store D

s_waitcnt vmcnt(63)                                // wait C (interleaved) 118 = 119 - 72 + 72 - 1
v_cvt_f32_bf8 v6, v160 src0_sel:BYTE_0   // convert bf8 in lo_byte[0] to f32
_v_mac_f32 v[vgprValuC+161], v6, s[sgprBeta]       // finalSum = sum*alpha + C*beta
v_cmp_class_f32 s[34:35], v[vgprValuC+161], v10    // check NaN and +/-INF
v_med3_f32 v6, v[vgprValuC+161], v8, v9            // Clipping f32 value if exceeds the limit
v_cndmask_b32 v6, v6, v[vgprValuC+161], s[34:35]   // 
v_cvt_pk_bf8_f32  v161, v6, v6                     // convert f32 accumulated values to fp8
buffer_store_byte v161, v11, s[sgprSrdD:sgprSrdD+3], 0, offen, offset:224,  sc0 sc1 // store D

s_waitcnt vmcnt(63)                                // wait C (interleaved) 118 = 119 - 73 + 73 - 1
v_cvt_f32_bf8 v6, v162 src0_sel:BYTE_0   // convert bf8 in lo_byte[0] to f32
_v_mac_f32 v[vgprValuC+163], v6, s[sgprBeta]       // finalSum = sum*alpha + C*beta
v_cmp_class_f32 s[34:35], v[vgprValuC+163], v10    // check NaN and +/-INF
v_med3_f32 v6, v[vgprValuC+163], v8, v9            // Clipping f32 value if exceeds the limit
v_cndmask_b32 v6, v6, v[vgprValuC+163], s[34:35]   // 
v_cvt_pk_bf8_f32  v163, v6, v6                     // convert f32 accumulated values to fp8
s_mul_i32 s34, s[sgprStrideD1J], 5                 // scale StrideD *= numRows(5) * bpe
s_add_u32  s[sgprSrdD+0], s[sgprSrdD+0], s34       // incToNextRow: gra SRD += inc(lower)
s_addc_u32  s[sgprSrdD+1], s[sgprSrdD+1], 0        // incToNextRow: gra SRD += inc(upper)
buffer_store_byte v163, v11, s[sgprSrdD:sgprSrdD+3], 0, offen, offset:0,  sc0 sc1 // store D

s_waitcnt vmcnt(63)                                // wait C (interleaved) 118 = 119 - 74 + 74 - 1
v_cvt_f32_bf8 v6, v164 src0_sel:BYTE_0   // convert bf8 in lo_byte[0] to f32
_v_mac_f32 v[vgprValuC+165], v6, s[sgprBeta]       // finalSum = sum*alpha + C*beta
v_cmp_class_f32 s[34:35], v[vgprValuC+165], v10    // check NaN and +/-INF
v_med3_f32 v6, v[vgprValuC+165], v8, v9            // Clipping f32 value if exceeds the limit
v_cndmask_b32 v6, v6, v[vgprValuC+165], s[34:35]   // 
v_cvt_pk_bf8_f32  v165, v6, v6                     // convert f32 accumulated values to fp8
buffer_store_byte v165, v11, s[sgprSrdD:sgprSrdD+3], 0, offen, offset:32,  sc0 sc1 // store D

s_waitcnt vmcnt(63)                                // wait C (interleaved) 118 = 119 - 75 + 75 - 1
v_cvt_f32_bf8 v6, v166 src0_sel:BYTE_0   // convert bf8 in lo_byte[0] to f32
_v_mac_f32 v[vgprValuC+167], v6, s[sgprBeta]       // finalSum = sum*alpha + C*beta
v_cmp_class_f32 s[34:35], v[vgprValuC+167], v10    // check NaN and +/-INF
v_med3_f32 v6, v[vgprValuC+167], v8, v9            // Clipping f32 value if exceeds the limit
v_cndmask_b32 v6, v6, v[vgprValuC+167], s[34:35]   // 
v_cvt_pk_bf8_f32  v167, v6, v6                     // convert f32 accumulated values to fp8
	;; [unrolled: 9-line block ×8, first 2 shown]
s_lshl_b32  s34, s[sgprStrideD1J], 0               // incToNextRow: Scale by BPE
s_add_u32  s[sgprSrdD+0], s[sgprSrdD+0], s34       // incToNextRow: gra SRD += inc(lower)
s_addc_u32  s[sgprSrdD+1], s[sgprSrdD+1], 0        // incToNextRow: gra SRD += inc(upper)
buffer_store_byte v179, v11, s[sgprSrdD:sgprSrdD+3], 0, offen, offset:0,  sc0 sc1 // store D

s_waitcnt vmcnt(63)                                // wait C (interleaved) 118 = 119 - 82 + 82 - 1
v_cvt_f32_bf8 v6, v180 src0_sel:BYTE_0   // convert bf8 in lo_byte[0] to f32
_v_mac_f32 v[vgprValuC+181], v6, s[sgprBeta]       // finalSum = sum*alpha + C*beta
v_cmp_class_f32 s[34:35], v[vgprValuC+181], v10    // check NaN and +/-INF
v_med3_f32 v6, v[vgprValuC+181], v8, v9            // Clipping f32 value if exceeds the limit
v_cndmask_b32 v6, v6, v[vgprValuC+181], s[34:35]   // 
v_cvt_pk_bf8_f32  v181, v6, v6                     // convert f32 accumulated values to fp8
buffer_store_byte v181, v11, s[sgprSrdD:sgprSrdD+3], 0, offen, offset:32,  sc0 sc1 // store D

s_waitcnt vmcnt(63)                                // wait C (interleaved) 118 = 119 - 83 + 83 - 1
v_cvt_f32_bf8 v6, v182 src0_sel:BYTE_0   // convert bf8 in lo_byte[0] to f32
_v_mac_f32 v[vgprValuC+183], v6, s[sgprBeta]       // finalSum = sum*alpha + C*beta
v_cmp_class_f32 s[34:35], v[vgprValuC+183], v10    // check NaN and +/-INF
v_med3_f32 v6, v[vgprValuC+183], v8, v9            // Clipping f32 value if exceeds the limit
v_cndmask_b32 v6, v6, v[vgprValuC+183], s[34:35]   // 
v_cvt_pk_bf8_f32  v183, v6, v6                     // convert f32 accumulated values to fp8
	;; [unrolled: 9-line block ×8, first 2 shown]
s_lshl_b32  s34, s[sgprStrideD1J], 0               // incToNextRow: Scale by BPE
s_add_u32  s[sgprSrdD+0], s[sgprSrdD+0], s34       // incToNextRow: gra SRD += inc(lower)
s_addc_u32  s[sgprSrdD+1], s[sgprSrdD+1], 0        // incToNextRow: gra SRD += inc(upper)
buffer_store_byte v195, v11, s[sgprSrdD:sgprSrdD+3], 0, offen, offset:0,  sc0 sc1 // store D

s_waitcnt vmcnt(63)                                // wait C (interleaved) 118 = 119 - 90 + 90 - 1
v_cvt_f32_bf8 v6, v196 src0_sel:BYTE_0   // convert bf8 in lo_byte[0] to f32
_v_mac_f32 v[vgprValuC+197], v6, s[sgprBeta]       // finalSum = sum*alpha + C*beta
v_cmp_class_f32 s[34:35], v[vgprValuC+197], v10    // check NaN and +/-INF
v_med3_f32 v6, v[vgprValuC+197], v8, v9            // Clipping f32 value if exceeds the limit
v_cndmask_b32 v6, v6, v[vgprValuC+197], s[34:35]   // 
v_cvt_pk_bf8_f32  v197, v6, v6                     // convert f32 accumulated values to fp8
buffer_store_byte v197, v11, s[sgprSrdD:sgprSrdD+3], 0, offen, offset:32,  sc0 sc1 // store D

s_waitcnt vmcnt(63)                                // wait C (interleaved) 118 = 119 - 91 + 91 - 1
v_cvt_f32_bf8 v6, v198 src0_sel:BYTE_0   // convert bf8 in lo_byte[0] to f32
_v_mac_f32 v[vgprValuC+199], v6, s[sgprBeta]       // finalSum = sum*alpha + C*beta
v_cmp_class_f32 s[34:35], v[vgprValuC+199], v10    // check NaN and +/-INF
v_med3_f32 v6, v[vgprValuC+199], v8, v9            // Clipping f32 value if exceeds the limit
v_cndmask_b32 v6, v6, v[vgprValuC+199], s[34:35]   // 
v_cvt_pk_bf8_f32  v199, v6, v6                     // convert f32 accumulated values to fp8
	;; [unrolled: 9-line block ×8, first 2 shown]
s_lshl_b32  s34, s[sgprStrideD1J], 0               // incToNextRow: Scale by BPE
s_add_u32  s[sgprSrdD+0], s[sgprSrdD+0], s34       // incToNextRow: gra SRD += inc(lower)
s_addc_u32  s[sgprSrdD+1], s[sgprSrdD+1], 0        // incToNextRow: gra SRD += inc(upper)
buffer_store_byte v211, v11, s[sgprSrdD:sgprSrdD+3], 0, offen, offset:0,  sc0 sc1 // store D

s_waitcnt vmcnt(63)                                // wait C (interleaved) 118 = 119 - 98 + 98 - 1
v_cvt_f32_bf8 v6, v212 src0_sel:BYTE_0   // convert bf8 in lo_byte[0] to f32
_v_mac_f32 v[vgprValuC+213], v6, s[sgprBeta]       // finalSum = sum*alpha + C*beta
v_cmp_class_f32 s[34:35], v[vgprValuC+213], v10    // check NaN and +/-INF
v_med3_f32 v6, v[vgprValuC+213], v8, v9            // Clipping f32 value if exceeds the limit
v_cndmask_b32 v6, v6, v[vgprValuC+213], s[34:35]   // 
v_cvt_pk_bf8_f32  v213, v6, v6                     // convert f32 accumulated values to fp8
buffer_store_byte v213, v11, s[sgprSrdD:sgprSrdD+3], 0, offen, offset:32,  sc0 sc1 // store D

s_waitcnt vmcnt(63)                                // wait C (interleaved) 118 = 119 - 99 + 99 - 1
v_cvt_f32_bf8 v6, v214 src0_sel:BYTE_0   // convert bf8 in lo_byte[0] to f32
_v_mac_f32 v[vgprValuC+215], v6, s[sgprBeta]       // finalSum = sum*alpha + C*beta
v_cmp_class_f32 s[34:35], v[vgprValuC+215], v10    // check NaN and +/-INF
v_med3_f32 v6, v[vgprValuC+215], v8, v9            // Clipping f32 value if exceeds the limit
v_cndmask_b32 v6, v6, v[vgprValuC+215], s[34:35]   // 
v_cvt_pk_bf8_f32  v215, v6, v6                     // convert f32 accumulated values to fp8
	;; [unrolled: 9-line block ×8, first 2 shown]
s_mul_i32 s34, s[sgprStrideD1J], 5                 // scale StrideD *= numRows(5) * bpe
s_add_u32  s[sgprSrdD+0], s[sgprSrdD+0], s34       // incToNextRow: gra SRD += inc(lower)
s_addc_u32  s[sgprSrdD+1], s[sgprSrdD+1], 0        // incToNextRow: gra SRD += inc(upper)
buffer_store_byte v227, v11, s[sgprSrdD:sgprSrdD+3], 0, offen, offset:0,  sc0 sc1 // store D

s_waitcnt vmcnt(63)                                // wait C (interleaved) 118 = 119 - 106 + 106 - 1
v_cvt_f32_bf8 v6, v228 src0_sel:BYTE_0   // convert bf8 in lo_byte[0] to f32
_v_mac_f32 v[vgprValuC+229], v6, s[sgprBeta]       // finalSum = sum*alpha + C*beta
v_cmp_class_f32 s[34:35], v[vgprValuC+229], v10    // check NaN and +/-INF
v_med3_f32 v6, v[vgprValuC+229], v8, v9            // Clipping f32 value if exceeds the limit
v_cndmask_b32 v6, v6, v[vgprValuC+229], s[34:35]   // 
v_cvt_pk_bf8_f32  v229, v6, v6                     // convert f32 accumulated values to fp8
buffer_store_byte v229, v11, s[sgprSrdD:sgprSrdD+3], 0, offen, offset:32,  sc0 sc1 // store D

s_waitcnt vmcnt(63)                                // wait C (interleaved) 118 = 119 - 107 + 107 - 1
v_cvt_f32_bf8 v6, v230 src0_sel:BYTE_0   // convert bf8 in lo_byte[0] to f32
_v_mac_f32 v[vgprValuC+231], v6, s[sgprBeta]       // finalSum = sum*alpha + C*beta
v_cmp_class_f32 s[34:35], v[vgprValuC+231], v10    // check NaN and +/-INF
v_med3_f32 v6, v[vgprValuC+231], v8, v9            // Clipping f32 value if exceeds the limit
v_cndmask_b32 v6, v6, v[vgprValuC+231], s[34:35]   // 
v_cvt_pk_bf8_f32  v231, v6, v6                     // convert f32 accumulated values to fp8
	;; [unrolled: 9-line block ×8, first 2 shown]
s_lshl_b32  s34, s[sgprStrideD1J], 0               // incToNextRow: Scale by BPE
s_add_u32  s[sgprSrdD+0], s[sgprSrdD+0], s34       // incToNextRow: gra SRD += inc(lower)
s_addc_u32  s[sgprSrdD+1], s[sgprSrdD+1], 0        // incToNextRow: gra SRD += inc(upper)
buffer_store_byte v243, v11, s[sgprSrdD:sgprSrdD+3], 0, offen, offset:0,  sc0 sc1 // store D

s_waitcnt vmcnt(63)                                // wait C (interleaved) 118 = 119 - 114 + 114 - 1
v_cvt_f32_bf8 v6, v244 src0_sel:BYTE_0   // convert bf8 in lo_byte[0] to f32
_v_mac_f32 v[vgprValuC+245], v6, s[sgprBeta]       // finalSum = sum*alpha + C*beta
v_cmp_class_f32 s[34:35], v[vgprValuC+245], v10    // check NaN and +/-INF
v_med3_f32 v6, v[vgprValuC+245], v8, v9            // Clipping f32 value if exceeds the limit
v_cndmask_b32 v6, v6, v[vgprValuC+245], s[34:35]   // 
v_cvt_pk_bf8_f32  v245, v6, v6                     // convert f32 accumulated values to fp8
buffer_store_byte v245, v11, s[sgprSrdD:sgprSrdD+3], 0, offen, offset:32,  sc0 sc1 // store D

s_waitcnt vmcnt(63)                                // wait C (interleaved) 118 = 119 - 115 + 115 - 1
v_cvt_f32_bf8 v6, v246 src0_sel:BYTE_0   // convert bf8 in lo_byte[0] to f32
_v_mac_f32 v[vgprValuC+247], v6, s[sgprBeta]       // finalSum = sum*alpha + C*beta
v_cmp_class_f32 s[34:35], v[vgprValuC+247], v10    // check NaN and +/-INF
v_med3_f32 v6, v[vgprValuC+247], v8, v9            // Clipping f32 value if exceeds the limit
v_cndmask_b32 v6, v6, v[vgprValuC+247], s[34:35]   // 
v_cvt_pk_bf8_f32  v247, v6, v6                     // convert f32 accumulated values to fp8
	;; [unrolled: 9-line block ×5, first 2 shown]
buffer_store_byte v253, v11, s[sgprSrdD:sgprSrdD+3], 0, offen, offset:160,  sc0 sc1 // store D
s_nop 0                                            // 1 wait state required when next inst writes vgprs held by previous dwordx4 store inst
/* optSingleColVgpr=1 optSharedColVgpr=0 optSGPRUsage=BufferLoad_Mask optSrdIncForRow=1 */
s_sleep 3 // optimization: sync and wait
s_barrier

/******************************************/
/* Global Write Alpha Beta Batch #2 (d1,d0,vc1,vc0) = */
/*    (7,6,1,0:vw1); (7,7,1,0:vw1); (7,0,2,0:vw1); (7,1,2,0:vw1); (7,2,2,0:vw1); (7,3,2,0:vw1); (7,4,2,0:vw1); (7,5,2,0:vw1); (7,6,2,0:vw1); (7,7,2,0:vw1); (7,0,3,0:vw1); (7,1,3,0:vw1); (7,2,3,0:vw1); (7,3,3,0:vw1); (7,4,3,0:vw1); (7,5,3,0:vw1); (7,6,3,0:vw1); (7,7,3,0:vw1) */
/******************************************/

/* calc coords, apply mask, and issue loads (if necessary) */
/* (d1,vc1,d0,vc0)=(7,1,6,0) */
buffer_load_ubyte v13, v12, s[sgprSrdC:sgprSrdC+3], 0, offen offset:192,  sc0 sc1 // load C for beta calc
/* (d1,vc1,d0,vc0)=(7,1,7,0) */
buffer_load_ubyte v15, v12, s[sgprSrdC:sgprSrdC+3], 0, offen offset:224,  sc0 sc1 // load C for beta calc
/* (d1,vc1,d0,vc0)=(7,2,0,0) */
s_lshl_b32  s34, s[sgprStrideC1J], 0               // incToNextRow: Scale by BPE
s_add_u32  s[sgprSrdC+0], s[sgprSrdC+0], s34       // incToNextRow: gra SRD += inc(lower)
s_addc_u32  s[sgprSrdC+1], s[sgprSrdC+1], 0        // incToNextRow: gra SRD += inc(upper)
buffer_load_ubyte v17, v12, s[sgprSrdC:sgprSrdC+3], 0, offen offset:0,  sc0 sc1 // load C for beta calc
/* (d1,vc1,d0,vc0)=(7,2,1,0) */
buffer_load_ubyte v19, v12, s[sgprSrdC:sgprSrdC+3], 0, offen offset:32,  sc0 sc1 // load C for beta calc
/* (d1,vc1,d0,vc0)=(7,2,2,0) */
	;; [unrolled: 2-line block ×8, first 2 shown]
s_lshl_b32  s34, s[sgprStrideC1J], 0               // incToNextRow: Scale by BPE
s_add_u32  s[sgprSrdC+0], s[sgprSrdC+0], s34       // incToNextRow: gra SRD += inc(lower)
s_addc_u32  s[sgprSrdC+1], s[sgprSrdC+1], 0        // incToNextRow: gra SRD += inc(upper)
buffer_load_ubyte v33, v12, s[sgprSrdC:sgprSrdC+3], 0, offen offset:0,  sc0 sc1 // load C for beta calc
/* (d1,vc1,d0,vc0)=(7,3,1,0) */
buffer_load_ubyte v35, v12, s[sgprSrdC:sgprSrdC+3], 0, offen offset:32,  sc0 sc1 // load C for beta calc
/* (d1,vc1,d0,vc0)=(7,3,2,0) */
	;; [unrolled: 2-line block ×7, first 2 shown]
buffer_load_ubyte v47, v12, s[sgprSrdC:sgprSrdC+3], 0, offen offset:224,  sc0 sc1 // load C for beta calc
s_sleep 3 // optimization: sync and wait
s_barrier
v_accvgpr_read_b32 v[vgprValuC+14], acc237 // copy acc to vreg[238]
v_accvgpr_read_b32 v[vgprValuC+16], acc253 // copy acc to vreg[239]
v_accvgpr_read_b32 v[vgprValuC+18], acc142 // copy acc to vreg[240]
v_accvgpr_read_b32 v[vgprValuC+20], acc158 // copy acc to vreg[241]
v_accvgpr_read_b32 v[vgprValuC+22], acc174 // copy acc to vreg[242]
v_accvgpr_read_b32 v[vgprValuC+24], acc190 // copy acc to vreg[243]
v_accvgpr_read_b32 v[vgprValuC+26], acc206 // copy acc to vreg[244]
v_accvgpr_read_b32 v[vgprValuC+28], acc222 // copy acc to vreg[245]
v_accvgpr_read_b32 v[vgprValuC+30], acc238 // copy acc to vreg[246]
v_accvgpr_read_b32 v[vgprValuC+32], acc254 // copy acc to vreg[247]
v_accvgpr_read_b32 v[vgprValuC+34], acc143 // copy acc to vreg[248]
v_accvgpr_read_b32 v[vgprValuC+36], acc159 // copy acc to vreg[249]
v_accvgpr_read_b32 v[vgprValuC+38], acc175 // copy acc to vreg[250]
v_accvgpr_read_b32 v[vgprValuC+40], acc191 // copy acc to vreg[251]
v_accvgpr_read_b32 v[vgprValuC+42], acc207 // copy acc to vreg[252]
v_accvgpr_read_b32 v[vgprValuC+44], acc223 // copy acc to vreg[253]
v_accvgpr_read_b32 v[vgprValuC+46], acc239 // copy acc to vreg[254]
v_accvgpr_read_b32 v[vgprValuC+48], acc255 // copy acc to vreg[255]
s_nop 1                                            // 2 wait states required before reading vgpr

/* rC *= alpha batchElements=[(7, 6, 1, 0), (7, 7, 1, 0), (7, 0, 2, 0), (7, 1, 2, 0), (7, 2, 2, 0), (7, 3, 2, 0), (7, 4, 2, 0), (7, 5, 2, 0), (7, 6, 2, 0), (7, 7, 2, 0), (7, 0, 3, 0), (7, 1, 3, 0), (7, 2, 3, 0), (7, 3, 3, 0), (7, 4, 3, 0), (7, 5, 3, 0), (7, 6, 3, 0), (7, 7, 3, 0)] */
v_mul_f32 v[vgprValuC+14], s[sgprAlpha], v[vgprValuC+14] // *= alpha
v_mul_f32 v[vgprValuC+16], s[sgprAlpha], v[vgprValuC+16] // *= alpha
	;; [unrolled: 1-line block ×18, first 2 shown]

/* apply mask, calc new C and issue writes */
v_mov_b32 v10, 0x207                               // flag for Nan and +/- inf
v_mov_b32 v8, 0x47600000                           // save 57344.0f as max for clipping
v_mov_b32 v9, 0xC7600000                           // save -57344`.0f as min for clipping

s_waitcnt vmcnt(17)                                // wait C (interleaved) 17 = 18 - 0 + 0 - 1
v_cvt_f32_bf8 v6, v13 src0_sel:BYTE_0   // convert bf8 in lo_byte[0] to f32
_v_mac_f32 v[vgprValuC+14], v6, s[sgprBeta]        // finalSum = sum*alpha + C*beta
v_cmp_class_f32 s[34:35], v[vgprValuC+14], v10     // check NaN and +/-INF
v_med3_f32 v6, v[vgprValuC+14], v8, v9             // Clipping f32 value if exceeds the limit
v_cndmask_b32 v6, v6, v[vgprValuC+14], s[34:35]    // 
v_cvt_pk_bf8_f32  v14, v6, v6                      // convert f32 accumulated values to fp8
buffer_store_byte v14, v11, s[sgprSrdD:sgprSrdD+3], 0, offen, offset:192,  sc0 sc1 // store D

s_waitcnt vmcnt(17)                                // wait C (interleaved) 17 = 18 - 1 + 1 - 1
v_cvt_f32_bf8 v6, v15 src0_sel:BYTE_0   // convert bf8 in lo_byte[0] to f32
_v_mac_f32 v[vgprValuC+16], v6, s[sgprBeta]        // finalSum = sum*alpha + C*beta
v_cmp_class_f32 s[34:35], v[vgprValuC+16], v10     // check NaN and +/-INF
v_med3_f32 v6, v[vgprValuC+16], v8, v9             // Clipping f32 value if exceeds the limit
v_cndmask_b32 v6, v6, v[vgprValuC+16], s[34:35]    // 
v_cvt_pk_bf8_f32  v16, v6, v6                      // convert f32 accumulated values to fp8
buffer_store_byte v16, v11, s[sgprSrdD:sgprSrdD+3], 0, offen, offset:224,  sc0 sc1 // store D

s_waitcnt vmcnt(17)                                // wait C (interleaved) 17 = 18 - 2 + 2 - 1
v_cvt_f32_bf8 v6, v17 src0_sel:BYTE_0   // convert bf8 in lo_byte[0] to f32
_v_mac_f32 v[vgprValuC+18], v6, s[sgprBeta]        // finalSum = sum*alpha + C*beta
v_cmp_class_f32 s[34:35], v[vgprValuC+18], v10     // check NaN and +/-INF
v_med3_f32 v6, v[vgprValuC+18], v8, v9             // Clipping f32 value if exceeds the limit
v_cndmask_b32 v6, v6, v[vgprValuC+18], s[34:35]    // 
v_cvt_pk_bf8_f32  v18, v6, v6                      // convert f32 accumulated values to fp8
s_lshl_b32  s34, s[sgprStrideD1J], 0               // incToNextRow: Scale by BPE
s_add_u32  s[sgprSrdD+0], s[sgprSrdD+0], s34       // incToNextRow: gra SRD += inc(lower)
s_addc_u32  s[sgprSrdD+1], s[sgprSrdD+1], 0        // incToNextRow: gra SRD += inc(upper)
buffer_store_byte v18, v11, s[sgprSrdD:sgprSrdD+3], 0, offen, offset:0,  sc0 sc1 // store D

s_waitcnt vmcnt(17)                                // wait C (interleaved) 17 = 18 - 3 + 3 - 1
v_cvt_f32_bf8 v6, v19 src0_sel:BYTE_0   // convert bf8 in lo_byte[0] to f32
_v_mac_f32 v[vgprValuC+20], v6, s[sgprBeta]        // finalSum = sum*alpha + C*beta
v_cmp_class_f32 s[34:35], v[vgprValuC+20], v10     // check NaN and +/-INF
v_med3_f32 v6, v[vgprValuC+20], v8, v9             // Clipping f32 value if exceeds the limit
v_cndmask_b32 v6, v6, v[vgprValuC+20], s[34:35]    // 
v_cvt_pk_bf8_f32  v20, v6, v6                      // convert f32 accumulated values to fp8
buffer_store_byte v20, v11, s[sgprSrdD:sgprSrdD+3], 0, offen, offset:32,  sc0 sc1 // store D

s_waitcnt vmcnt(17)                                // wait C (interleaved) 17 = 18 - 4 + 4 - 1
v_cvt_f32_bf8 v6, v21 src0_sel:BYTE_0   // convert bf8 in lo_byte[0] to f32
_v_mac_f32 v[vgprValuC+22], v6, s[sgprBeta]        // finalSum = sum*alpha + C*beta
v_cmp_class_f32 s[34:35], v[vgprValuC+22], v10     // check NaN and +/-INF
v_med3_f32 v6, v[vgprValuC+22], v8, v9             // Clipping f32 value if exceeds the limit
v_cndmask_b32 v6, v6, v[vgprValuC+22], s[34:35]    // 
v_cvt_pk_bf8_f32  v22, v6, v6                      // convert f32 accumulated values to fp8
	;; [unrolled: 9-line block ×8, first 2 shown]
s_lshl_b32  s34, s[sgprStrideD1J], 0               // incToNextRow: Scale by BPE
s_add_u32  s[sgprSrdD+0], s[sgprSrdD+0], s34       // incToNextRow: gra SRD += inc(lower)
s_addc_u32  s[sgprSrdD+1], s[sgprSrdD+1], 0        // incToNextRow: gra SRD += inc(upper)
buffer_store_byte v34, v11, s[sgprSrdD:sgprSrdD+3], 0, offen, offset:0,  sc0 sc1 // store D

s_waitcnt vmcnt(17)                                // wait C (interleaved) 17 = 18 - 11 + 11 - 1
v_cvt_f32_bf8 v6, v35 src0_sel:BYTE_0   // convert bf8 in lo_byte[0] to f32
_v_mac_f32 v[vgprValuC+36], v6, s[sgprBeta]        // finalSum = sum*alpha + C*beta
v_cmp_class_f32 s[34:35], v[vgprValuC+36], v10     // check NaN and +/-INF
v_med3_f32 v6, v[vgprValuC+36], v8, v9             // Clipping f32 value if exceeds the limit
v_cndmask_b32 v6, v6, v[vgprValuC+36], s[34:35]    // 
v_cvt_pk_bf8_f32  v36, v6, v6                      // convert f32 accumulated values to fp8
buffer_store_byte v36, v11, s[sgprSrdD:sgprSrdD+3], 0, offen, offset:32,  sc0 sc1 // store D

s_waitcnt vmcnt(17)                                // wait C (interleaved) 17 = 18 - 12 + 12 - 1
v_cvt_f32_bf8 v6, v37 src0_sel:BYTE_0   // convert bf8 in lo_byte[0] to f32
_v_mac_f32 v[vgprValuC+38], v6, s[sgprBeta]        // finalSum = sum*alpha + C*beta
v_cmp_class_f32 s[34:35], v[vgprValuC+38], v10     // check NaN and +/-INF
v_med3_f32 v6, v[vgprValuC+38], v8, v9             // Clipping f32 value if exceeds the limit
v_cndmask_b32 v6, v6, v[vgprValuC+38], s[34:35]    // 
v_cvt_pk_bf8_f32  v38, v6, v6                      // convert f32 accumulated values to fp8
	;; [unrolled: 9-line block ×7, first 2 shown]
buffer_store_byte v48, v11, s[sgprSrdD:sgprSrdD+3], 0, offen, offset:224,  sc0 sc1 // store D
s_nop 0                                            // 1 wait state required when next inst writes vgprs held by previous dwordx4 store inst
s_branch label_GW_End_42                           // jump to end
GW_B1_E1_41:

/* edge=1, allocate 6 sgpr. perBatchTmpS=4 perBatchMaskS=2 perElementMaskS=0 elementsPerBatch=80 */
/* optSingleColVgpr=0 optSharedColVgpr=0 optSGPRUsage=BufferLoad_Edge_Mask optSrdIncForRow=0 */
s_sleep 3 // optimization: sync and wait
s_barrier

/******************************************/
/* Global Write Alpha Beta Edge Batch #0 (d1,d0,vc1,vc0) = */
/*    (0,0,0,0:vw1); (0,1,0,0:vw1); (0,2,0,0:vw1); (0,3,0,0:vw1); (0,4,0,0:vw1); (0,5,0,0:vw1); (0,6,0,0:vw1); (0,7,0,0:vw1); (0,0,1,0:vw1); (0,1,1,0:vw1); (0,2,1,0:vw1); (0,3,1,0:vw1); (0,4,1,0:vw1); (0,5,1,0:vw1); (0,6,1,0:vw1); (0,7,1,0:vw1); (0,0,2,0:vw1); (0,1,2,0:vw1); (0,2,2,0:vw1); (0,3,2,0:vw1); (0,4,2,0:vw1); (0,5,2,0:vw1); (0,6,2,0:vw1); (0,7,2,0:vw1); (0,0,3,0:vw1); (0,1,3,0:vw1); (0,2,3,0:vw1); (0,3,3,0:vw1); (0,4,3,0:vw1); (0,5,3,0:vw1); (0,6,3,0:vw1); (0,7,3,0:vw1); (1,0,0,0:vw1); (1,1,0,0:vw1); (1,2,0,0:vw1); (1,3,0,0:vw1); (1,4,0,0:vw1); (1,5,0,0:vw1); (1,6,0,0:vw1); (1,7,0,0:vw1); (1,0,1,0:vw1); (1,1,1,0:vw1); (1,2,1,0:vw1); (1,3,1,0:vw1); (1,4,1,0:vw1); (1,5,1,0:vw1); (1,6,1,0:vw1); (1,7,1,0:vw1); (1,0,2,0:vw1); (1,1,2,0:vw1); (1,2,2,0:vw1); (1,3,2,0:vw1); (1,4,2,0:vw1); (1,5,2,0:vw1); (1,6,2,0:vw1); (1,7,2,0:vw1); (1,0,3,0:vw1); (1,1,3,0:vw1); (1,2,3,0:vw1); (1,3,3,0:vw1); (1,4,3,0:vw1); (1,5,3,0:vw1); (1,6,3,0:vw1); (1,7,3,0:vw1); (2,0,0,0:vw1); (2,1,0,0:vw1); (2,2,0,0:vw1); (2,3,0,0:vw1); (2,4,0,0:vw1); (2,5,0,0:vw1); (2,6,0,0:vw1); (2,7,0,0:vw1); (2,0,1,0:vw1); (2,1,1,0:vw1); (2,2,1,0:vw1); (2,3,1,0:vw1); (2,4,1,0:vw1); (2,5,1,0:vw1); (2,6,1,0:vw1); (2,7,1,0:vw1) */
/******************************************/

/* calc coords, apply mask, and issue loads (if necessary) */
/* (d1,vc1,d0,vc0)=(0,0,0,0) */
v_cmp_lt_u32 s[52:53], v0, s[sgprSizeI]            // coord0 < size0
v_cmp_lt_u32 s[56:57], v1, s[sgprSizeJ]            // coord1 < size1
s_and_b64 s[56:57], s[52:53], s[56:57]             // in0 && in1
_v_add_lshl_u32 v11, v2, v0, 0x0                   // scaleToBpe: accumulate d0 lower and *= bpe into Cin addr
v_cndmask_b32 v11, -1, v11, s[56:57]               // LDC clip if OOB. offset
buffer_load_ubyte v12, v11, s[sgprSrdC:sgprSrdC+3], 0, offen offset:0,  sc0 sc1 // load C for beta calc
_v_add_lshl_u32 v11, v3, v0, 0x0                   // scaleToBpe: accumulate d0 lower and *= bpe into Cin addr
v_cndmask_b32 v11, -1, v11, s[56:57]               // LDD clip if OOB. offset
/* (d1,vc1,d0,vc0)=(0,0,1,0) */
_v_add_co_u32 v4, vcc, v0, 32                      // coord0.1: coord0 += d0*sg0*VW + vc0
v_cmp_lt_u32 s[52:53], v4, s[sgprSizeI]            // coord0 < size0
v_cmp_lt_u32 s[56:57], v1, s[sgprSizeJ]            // coord1 < size1
s_and_b64 s[56:57], s[52:53], s[56:57]             // in0 && in1
_v_add_lshl_u32 v14, v2, v4, 0x0                   // scaleToBpe: accumulate d0 lower and *= bpe into Cin addr
v_cndmask_b32 v14, -1, v14, s[56:57]               // LDC clip if OOB. offset
buffer_load_ubyte v15, v14, s[sgprSrdC:sgprSrdC+3], 0, offen offset:0,  sc0 sc1 // load C for beta calc
_v_add_lshl_u32 v14, v3, v4, 0x0                   // scaleToBpe: accumulate d0 lower and *= bpe into Cin addr
v_cndmask_b32 v14, -1, v14, s[56:57]               // LDD clip if OOB. offset
/* (d1,vc1,d0,vc0)=(0,0,2,0) */
_v_add_co_u32 v4, vcc, v0, 64                      // coord0.1: coord0 += d0*sg0*VW + vc0
v_cmp_lt_u32 s[52:53], v4, s[sgprSizeI]            // coord0 < size0
v_cmp_lt_u32 s[56:57], v1, s[sgprSizeJ]            // coord1 < size1
s_and_b64 s[56:57], s[52:53], s[56:57]             // in0 && in1
_v_add_lshl_u32 v17, v2, v4, 0x0                   // scaleToBpe: accumulate d0 lower and *= bpe into Cin addr
v_cndmask_b32 v17, -1, v17, s[56:57]               // LDC clip if OOB. offset
buffer_load_ubyte v18, v17, s[sgprSrdC:sgprSrdC+3], 0, offen offset:0,  sc0 sc1 // load C for beta calc
_v_add_lshl_u32 v17, v3, v4, 0x0                   // scaleToBpe: accumulate d0 lower and *= bpe into Cin addr
v_cndmask_b32 v17, -1, v17, s[56:57]               // LDD clip if OOB. offset
/* (d1,vc1,d0,vc0)=(0,0,3,0) */
s_mov_b32 s52, 96                                  // coordOffset0 d0=3 vc0=0
_v_add_co_u32 v4, vcc, v0, s52                     // coord0.2: coord0 += d0*sg0*VW + vc0
v_cmp_lt_u32 s[52:53], v4, s[sgprSizeI]            // coord0 < size0
v_cmp_lt_u32 s[56:57], v1, s[sgprSizeJ]            // coord1 < size1
s_and_b64 s[56:57], s[52:53], s[56:57]             // in0 && in1
_v_add_lshl_u32 v20, v2, v4, 0x0                   // scaleToBpe: accumulate d0 lower and *= bpe into Cin addr
v_cndmask_b32 v20, -1, v20, s[56:57]               // LDC clip if OOB. offset
buffer_load_ubyte v21, v20, s[sgprSrdC:sgprSrdC+3], 0, offen offset:0,  sc0 sc1 // load C for beta calc
_v_add_lshl_u32 v20, v3, v4, 0x0                   // scaleToBpe: accumulate d0 lower and *= bpe into Cin addr
v_cndmask_b32 v20, -1, v20, s[56:57]               // LDD clip if OOB. offset
/* (d1,vc1,d0,vc0)=(0,0,4,0) */
s_mov_b32 s52, 128                                 // coordOffset0 d0=4 vc0=0
_v_add_co_u32 v4, vcc, v0, s52                     // coord0.2: coord0 += d0*sg0*VW + vc0
v_cmp_lt_u32 s[52:53], v4, s[sgprSizeI]            // coord0 < size0
v_cmp_lt_u32 s[56:57], v1, s[sgprSizeJ]            // coord1 < size1
s_and_b64 s[56:57], s[52:53], s[56:57]             // in0 && in1
_v_add_lshl_u32 v23, v2, v4, 0x0                   // scaleToBpe: accumulate d0 lower and *= bpe into Cin addr
v_cndmask_b32 v23, -1, v23, s[56:57]               // LDC clip if OOB. offset
buffer_load_ubyte v24, v23, s[sgprSrdC:sgprSrdC+3], 0, offen offset:0,  sc0 sc1 // load C for beta calc
_v_add_lshl_u32 v23, v3, v4, 0x0                   // scaleToBpe: accumulate d0 lower and *= bpe into Cin addr
v_cndmask_b32 v23, -1, v23, s[56:57]               // LDD clip if OOB. offset
/* (d1,vc1,d0,vc0)=(0,0,5,0) */
s_mov_b32 s52, 160                                 // coordOffset0 d0=5 vc0=0
	;; [unrolled: 11-line block ×4, first 2 shown]
_v_add_co_u32 v4, vcc, v0, s52                     // coord0.2: coord0 += d0*sg0*VW + vc0
v_cmp_lt_u32 s[52:53], v4, s[sgprSizeI]            // coord0 < size0
v_cmp_lt_u32 s[56:57], v1, s[sgprSizeJ]            // coord1 < size1
s_and_b64 s[56:57], s[52:53], s[56:57]             // in0 && in1
_v_add_lshl_u32 v32, v2, v4, 0x0                   // scaleToBpe: accumulate d0 lower and *= bpe into Cin addr
v_cndmask_b32 v32, -1, v32, s[56:57]               // LDC clip if OOB. offset
buffer_load_ubyte v33, v32, s[sgprSrdC:sgprSrdC+3], 0, offen offset:0,  sc0 sc1 // load C for beta calc
_v_add_lshl_u32 v32, v3, v4, 0x0                   // scaleToBpe: accumulate d0 lower and *= bpe into Cin addr
v_cndmask_b32 v32, -1, v32, s[56:57]               // LDD clip if OOB. offset
/* (d1,vc1,d0,vc0)=(0,1,0,0) */
_v_add_co_u32 v1, vcc, v1, 1                       // coord1.1: coord1Vgpr += d1*sg1*VW + vc1

/* Fix for UseInitialStridesCD, emitAddressSetupCode */
_v_add_u32 v2, v2, s[sgprStrideC1J]                // ROWINC- Move cinRowPtr to next row
_v_add_u32 v3, v3, s[sgprStrideD1J]                // Move coutRowPtr to next row
v_cmp_lt_u32 s[52:53], v0, s[sgprSizeI]            // coord0 < size0
v_cmp_lt_u32 s[56:57], v1, s[sgprSizeJ]            // coord1 < size1
s_and_b64 s[56:57], s[52:53], s[56:57]             // in0 && in1
_v_add_lshl_u32 v35, v2, v0, 0x0                   // scaleToBpe: accumulate d0 lower and *= bpe into Cin addr
v_cndmask_b32 v35, -1, v35, s[56:57]               // LDC clip if OOB. offset
buffer_load_ubyte v36, v35, s[sgprSrdC:sgprSrdC+3], 0, offen offset:0,  sc0 sc1 // load C for beta calc
_v_add_lshl_u32 v35, v3, v0, 0x0                   // scaleToBpe: accumulate d0 lower and *= bpe into Cin addr
v_cndmask_b32 v35, -1, v35, s[56:57]               // LDD clip if OOB. offset
/* (d1,vc1,d0,vc0)=(0,1,1,0) */
_v_add_co_u32 v4, vcc, v0, 32                      // coord0.1: coord0 += d0*sg0*VW + vc0
v_cmp_lt_u32 s[52:53], v4, s[sgprSizeI]            // coord0 < size0
v_cmp_lt_u32 s[56:57], v1, s[sgprSizeJ]            // coord1 < size1
s_and_b64 s[56:57], s[52:53], s[56:57]             // in0 && in1
_v_add_lshl_u32 v38, v2, v4, 0x0                   // scaleToBpe: accumulate d0 lower and *= bpe into Cin addr
v_cndmask_b32 v38, -1, v38, s[56:57]               // LDC clip if OOB. offset
buffer_load_ubyte v39, v38, s[sgprSrdC:sgprSrdC+3], 0, offen offset:0,  sc0 sc1 // load C for beta calc
_v_add_lshl_u32 v38, v3, v4, 0x0                   // scaleToBpe: accumulate d0 lower and *= bpe into Cin addr
v_cndmask_b32 v38, -1, v38, s[56:57]               // LDD clip if OOB. offset
/* (d1,vc1,d0,vc0)=(0,1,2,0) */
_v_add_co_u32 v4, vcc, v0, 64                      // coord0.1: coord0 += d0*sg0*VW + vc0
v_cmp_lt_u32 s[52:53], v4, s[sgprSizeI]            // coord0 < size0
v_cmp_lt_u32 s[56:57], v1, s[sgprSizeJ]            // coord1 < size1
s_and_b64 s[56:57], s[52:53], s[56:57]             // in0 && in1
_v_add_lshl_u32 v41, v2, v4, 0x0                   // scaleToBpe: accumulate d0 lower and *= bpe into Cin addr
v_cndmask_b32 v41, -1, v41, s[56:57]               // LDC clip if OOB. offset
buffer_load_ubyte v42, v41, s[sgprSrdC:sgprSrdC+3], 0, offen offset:0,  sc0 sc1 // load C for beta calc
_v_add_lshl_u32 v41, v3, v4, 0x0                   // scaleToBpe: accumulate d0 lower and *= bpe into Cin addr
v_cndmask_b32 v41, -1, v41, s[56:57]               // LDD clip if OOB. offset
/* (d1,vc1,d0,vc0)=(0,1,3,0) */
s_mov_b32 s52, 96                                  // coordOffset0 d0=3 vc0=0
_v_add_co_u32 v4, vcc, v0, s52                     // coord0.2: coord0 += d0*sg0*VW + vc0
v_cmp_lt_u32 s[52:53], v4, s[sgprSizeI]            // coord0 < size0
v_cmp_lt_u32 s[56:57], v1, s[sgprSizeJ]            // coord1 < size1
s_and_b64 s[56:57], s[52:53], s[56:57]             // in0 && in1
_v_add_lshl_u32 v44, v2, v4, 0x0                   // scaleToBpe: accumulate d0 lower and *= bpe into Cin addr
v_cndmask_b32 v44, -1, v44, s[56:57]               // LDC clip if OOB. offset
buffer_load_ubyte v45, v44, s[sgprSrdC:sgprSrdC+3], 0, offen offset:0,  sc0 sc1 // load C for beta calc
_v_add_lshl_u32 v44, v3, v4, 0x0                   // scaleToBpe: accumulate d0 lower and *= bpe into Cin addr
v_cndmask_b32 v44, -1, v44, s[56:57]               // LDD clip if OOB. offset
/* (d1,vc1,d0,vc0)=(0,1,4,0) */
s_mov_b32 s52, 128                                 // coordOffset0 d0=4 vc0=0
_v_add_co_u32 v4, vcc, v0, s52                     // coord0.2: coord0 += d0*sg0*VW + vc0
v_cmp_lt_u32 s[52:53], v4, s[sgprSizeI]            // coord0 < size0
v_cmp_lt_u32 s[56:57], v1, s[sgprSizeJ]            // coord1 < size1
s_and_b64 s[56:57], s[52:53], s[56:57]             // in0 && in1
_v_add_lshl_u32 v47, v2, v4, 0x0                   // scaleToBpe: accumulate d0 lower and *= bpe into Cin addr
v_cndmask_b32 v47, -1, v47, s[56:57]               // LDC clip if OOB. offset
buffer_load_ubyte v48, v47, s[sgprSrdC:sgprSrdC+3], 0, offen offset:0,  sc0 sc1 // load C for beta calc
_v_add_lshl_u32 v47, v3, v4, 0x0                   // scaleToBpe: accumulate d0 lower and *= bpe into Cin addr
v_cndmask_b32 v47, -1, v47, s[56:57]               // LDD clip if OOB. offset
/* (d1,vc1,d0,vc0)=(0,1,5,0) */
s_mov_b32 s52, 160                                 // coordOffset0 d0=5 vc0=0
	;; [unrolled: 11-line block ×4, first 2 shown]
_v_add_co_u32 v4, vcc, v0, s52                     // coord0.2: coord0 += d0*sg0*VW + vc0
v_cmp_lt_u32 s[52:53], v4, s[sgprSizeI]            // coord0 < size0
v_cmp_lt_u32 s[56:57], v1, s[sgprSizeJ]            // coord1 < size1
s_and_b64 s[56:57], s[52:53], s[56:57]             // in0 && in1
_v_add_lshl_u32 v56, v2, v4, 0x0                   // scaleToBpe: accumulate d0 lower and *= bpe into Cin addr
v_cndmask_b32 v56, -1, v56, s[56:57]               // LDC clip if OOB. offset
buffer_load_ubyte v57, v56, s[sgprSrdC:sgprSrdC+3], 0, offen offset:0,  sc0 sc1 // load C for beta calc
_v_add_lshl_u32 v56, v3, v4, 0x0                   // scaleToBpe: accumulate d0 lower and *= bpe into Cin addr
v_cndmask_b32 v56, -1, v56, s[56:57]               // LDD clip if OOB. offset
/* (d1,vc1,d0,vc0)=(0,2,0,0) */
_v_add_co_u32 v1, vcc, v1, 1                       // coord1.1: coord1Vgpr += d1*sg1*VW + vc1

/* Fix for UseInitialStridesCD, emitAddressSetupCode */
_v_add_u32 v2, v2, s[sgprStrideC1J]                // ROWINC- Move cinRowPtr to next row
_v_add_u32 v3, v3, s[sgprStrideD1J]                // Move coutRowPtr to next row
v_cmp_lt_u32 s[52:53], v0, s[sgprSizeI]            // coord0 < size0
v_cmp_lt_u32 s[56:57], v1, s[sgprSizeJ]            // coord1 < size1
s_and_b64 s[56:57], s[52:53], s[56:57]             // in0 && in1
_v_add_lshl_u32 v59, v2, v0, 0x0                   // scaleToBpe: accumulate d0 lower and *= bpe into Cin addr
v_cndmask_b32 v59, -1, v59, s[56:57]               // LDC clip if OOB. offset
buffer_load_ubyte v60, v59, s[sgprSrdC:sgprSrdC+3], 0, offen offset:0,  sc0 sc1 // load C for beta calc
_v_add_lshl_u32 v59, v3, v0, 0x0                   // scaleToBpe: accumulate d0 lower and *= bpe into Cin addr
v_cndmask_b32 v59, -1, v59, s[56:57]               // LDD clip if OOB. offset
/* (d1,vc1,d0,vc0)=(0,2,1,0) */
_v_add_co_u32 v4, vcc, v0, 32                      // coord0.1: coord0 += d0*sg0*VW + vc0
v_cmp_lt_u32 s[52:53], v4, s[sgprSizeI]            // coord0 < size0
v_cmp_lt_u32 s[56:57], v1, s[sgprSizeJ]            // coord1 < size1
s_and_b64 s[56:57], s[52:53], s[56:57]             // in0 && in1
_v_add_lshl_u32 v62, v2, v4, 0x0                   // scaleToBpe: accumulate d0 lower and *= bpe into Cin addr
v_cndmask_b32 v62, -1, v62, s[56:57]               // LDC clip if OOB. offset
buffer_load_ubyte v63, v62, s[sgprSrdC:sgprSrdC+3], 0, offen offset:0,  sc0 sc1 // load C for beta calc
_v_add_lshl_u32 v62, v3, v4, 0x0                   // scaleToBpe: accumulate d0 lower and *= bpe into Cin addr
v_cndmask_b32 v62, -1, v62, s[56:57]               // LDD clip if OOB. offset
/* (d1,vc1,d0,vc0)=(0,2,2,0) */
_v_add_co_u32 v4, vcc, v0, 64                      // coord0.1: coord0 += d0*sg0*VW + vc0
v_cmp_lt_u32 s[52:53], v4, s[sgprSizeI]            // coord0 < size0
v_cmp_lt_u32 s[56:57], v1, s[sgprSizeJ]            // coord1 < size1
s_and_b64 s[56:57], s[52:53], s[56:57]             // in0 && in1
_v_add_lshl_u32 v65, v2, v4, 0x0                   // scaleToBpe: accumulate d0 lower and *= bpe into Cin addr
v_cndmask_b32 v65, -1, v65, s[56:57]               // LDC clip if OOB. offset
buffer_load_ubyte v66, v65, s[sgprSrdC:sgprSrdC+3], 0, offen offset:0,  sc0 sc1 // load C for beta calc
_v_add_lshl_u32 v65, v3, v4, 0x0                   // scaleToBpe: accumulate d0 lower and *= bpe into Cin addr
v_cndmask_b32 v65, -1, v65, s[56:57]               // LDD clip if OOB. offset
/* (d1,vc1,d0,vc0)=(0,2,3,0) */
s_mov_b32 s52, 96                                  // coordOffset0 d0=3 vc0=0
_v_add_co_u32 v4, vcc, v0, s52                     // coord0.2: coord0 += d0*sg0*VW + vc0
v_cmp_lt_u32 s[52:53], v4, s[sgprSizeI]            // coord0 < size0
v_cmp_lt_u32 s[56:57], v1, s[sgprSizeJ]            // coord1 < size1
s_and_b64 s[56:57], s[52:53], s[56:57]             // in0 && in1
_v_add_lshl_u32 v68, v2, v4, 0x0                   // scaleToBpe: accumulate d0 lower and *= bpe into Cin addr
v_cndmask_b32 v68, -1, v68, s[56:57]               // LDC clip if OOB. offset
buffer_load_ubyte v69, v68, s[sgprSrdC:sgprSrdC+3], 0, offen offset:0,  sc0 sc1 // load C for beta calc
_v_add_lshl_u32 v68, v3, v4, 0x0                   // scaleToBpe: accumulate d0 lower and *= bpe into Cin addr
v_cndmask_b32 v68, -1, v68, s[56:57]               // LDD clip if OOB. offset
/* (d1,vc1,d0,vc0)=(0,2,4,0) */
s_mov_b32 s52, 128                                 // coordOffset0 d0=4 vc0=0
_v_add_co_u32 v4, vcc, v0, s52                     // coord0.2: coord0 += d0*sg0*VW + vc0
v_cmp_lt_u32 s[52:53], v4, s[sgprSizeI]            // coord0 < size0
v_cmp_lt_u32 s[56:57], v1, s[sgprSizeJ]            // coord1 < size1
s_and_b64 s[56:57], s[52:53], s[56:57]             // in0 && in1
_v_add_lshl_u32 v71, v2, v4, 0x0                   // scaleToBpe: accumulate d0 lower and *= bpe into Cin addr
v_cndmask_b32 v71, -1, v71, s[56:57]               // LDC clip if OOB. offset
buffer_load_ubyte v72, v71, s[sgprSrdC:sgprSrdC+3], 0, offen offset:0,  sc0 sc1 // load C for beta calc
_v_add_lshl_u32 v71, v3, v4, 0x0                   // scaleToBpe: accumulate d0 lower and *= bpe into Cin addr
v_cndmask_b32 v71, -1, v71, s[56:57]               // LDD clip if OOB. offset
/* (d1,vc1,d0,vc0)=(0,2,5,0) */
s_mov_b32 s52, 160                                 // coordOffset0 d0=5 vc0=0
	;; [unrolled: 11-line block ×4, first 2 shown]
_v_add_co_u32 v4, vcc, v0, s52                     // coord0.2: coord0 += d0*sg0*VW + vc0
v_cmp_lt_u32 s[52:53], v4, s[sgprSizeI]            // coord0 < size0
v_cmp_lt_u32 s[56:57], v1, s[sgprSizeJ]            // coord1 < size1
s_and_b64 s[56:57], s[52:53], s[56:57]             // in0 && in1
_v_add_lshl_u32 v80, v2, v4, 0x0                   // scaleToBpe: accumulate d0 lower and *= bpe into Cin addr
v_cndmask_b32 v80, -1, v80, s[56:57]               // LDC clip if OOB. offset
buffer_load_ubyte v81, v80, s[sgprSrdC:sgprSrdC+3], 0, offen offset:0,  sc0 sc1 // load C for beta calc
_v_add_lshl_u32 v80, v3, v4, 0x0                   // scaleToBpe: accumulate d0 lower and *= bpe into Cin addr
v_cndmask_b32 v80, -1, v80, s[56:57]               // LDD clip if OOB. offset
/* (d1,vc1,d0,vc0)=(0,3,0,0) */
_v_add_co_u32 v1, vcc, v1, 1                       // coord1.1: coord1Vgpr += d1*sg1*VW + vc1

/* Fix for UseInitialStridesCD, emitAddressSetupCode */
_v_add_u32 v2, v2, s[sgprStrideC1J]                // ROWINC- Move cinRowPtr to next row
_v_add_u32 v3, v3, s[sgprStrideD1J]                // Move coutRowPtr to next row
v_cmp_lt_u32 s[52:53], v0, s[sgprSizeI]            // coord0 < size0
v_cmp_lt_u32 s[56:57], v1, s[sgprSizeJ]            // coord1 < size1
s_and_b64 s[56:57], s[52:53], s[56:57]             // in0 && in1
_v_add_lshl_u32 v83, v2, v0, 0x0                   // scaleToBpe: accumulate d0 lower and *= bpe into Cin addr
v_cndmask_b32 v83, -1, v83, s[56:57]               // LDC clip if OOB. offset
buffer_load_ubyte v84, v83, s[sgprSrdC:sgprSrdC+3], 0, offen offset:0,  sc0 sc1 // load C for beta calc
_v_add_lshl_u32 v83, v3, v0, 0x0                   // scaleToBpe: accumulate d0 lower and *= bpe into Cin addr
v_cndmask_b32 v83, -1, v83, s[56:57]               // LDD clip if OOB. offset
/* (d1,vc1,d0,vc0)=(0,3,1,0) */
_v_add_co_u32 v4, vcc, v0, 32                      // coord0.1: coord0 += d0*sg0*VW + vc0
v_cmp_lt_u32 s[52:53], v4, s[sgprSizeI]            // coord0 < size0
v_cmp_lt_u32 s[56:57], v1, s[sgprSizeJ]            // coord1 < size1
s_and_b64 s[56:57], s[52:53], s[56:57]             // in0 && in1
_v_add_lshl_u32 v86, v2, v4, 0x0                   // scaleToBpe: accumulate d0 lower and *= bpe into Cin addr
v_cndmask_b32 v86, -1, v86, s[56:57]               // LDC clip if OOB. offset
buffer_load_ubyte v87, v86, s[sgprSrdC:sgprSrdC+3], 0, offen offset:0,  sc0 sc1 // load C for beta calc
_v_add_lshl_u32 v86, v3, v4, 0x0                   // scaleToBpe: accumulate d0 lower and *= bpe into Cin addr
v_cndmask_b32 v86, -1, v86, s[56:57]               // LDD clip if OOB. offset
/* (d1,vc1,d0,vc0)=(0,3,2,0) */
_v_add_co_u32 v4, vcc, v0, 64                      // coord0.1: coord0 += d0*sg0*VW + vc0
v_cmp_lt_u32 s[52:53], v4, s[sgprSizeI]            // coord0 < size0
v_cmp_lt_u32 s[56:57], v1, s[sgprSizeJ]            // coord1 < size1
s_and_b64 s[56:57], s[52:53], s[56:57]             // in0 && in1
_v_add_lshl_u32 v89, v2, v4, 0x0                   // scaleToBpe: accumulate d0 lower and *= bpe into Cin addr
v_cndmask_b32 v89, -1, v89, s[56:57]               // LDC clip if OOB. offset
buffer_load_ubyte v90, v89, s[sgprSrdC:sgprSrdC+3], 0, offen offset:0,  sc0 sc1 // load C for beta calc
_v_add_lshl_u32 v89, v3, v4, 0x0                   // scaleToBpe: accumulate d0 lower and *= bpe into Cin addr
v_cndmask_b32 v89, -1, v89, s[56:57]               // LDD clip if OOB. offset
/* (d1,vc1,d0,vc0)=(0,3,3,0) */
s_mov_b32 s52, 96                                  // coordOffset0 d0=3 vc0=0
_v_add_co_u32 v4, vcc, v0, s52                     // coord0.2: coord0 += d0*sg0*VW + vc0
v_cmp_lt_u32 s[52:53], v4, s[sgprSizeI]            // coord0 < size0
v_cmp_lt_u32 s[56:57], v1, s[sgprSizeJ]            // coord1 < size1
s_and_b64 s[56:57], s[52:53], s[56:57]             // in0 && in1
_v_add_lshl_u32 v92, v2, v4, 0x0                   // scaleToBpe: accumulate d0 lower and *= bpe into Cin addr
v_cndmask_b32 v92, -1, v92, s[56:57]               // LDC clip if OOB. offset
buffer_load_ubyte v93, v92, s[sgprSrdC:sgprSrdC+3], 0, offen offset:0,  sc0 sc1 // load C for beta calc
_v_add_lshl_u32 v92, v3, v4, 0x0                   // scaleToBpe: accumulate d0 lower and *= bpe into Cin addr
v_cndmask_b32 v92, -1, v92, s[56:57]               // LDD clip if OOB. offset
/* (d1,vc1,d0,vc0)=(0,3,4,0) */
s_mov_b32 s52, 128                                 // coordOffset0 d0=4 vc0=0
_v_add_co_u32 v4, vcc, v0, s52                     // coord0.2: coord0 += d0*sg0*VW + vc0
v_cmp_lt_u32 s[52:53], v4, s[sgprSizeI]            // coord0 < size0
v_cmp_lt_u32 s[56:57], v1, s[sgprSizeJ]            // coord1 < size1
s_and_b64 s[56:57], s[52:53], s[56:57]             // in0 && in1
_v_add_lshl_u32 v95, v2, v4, 0x0                   // scaleToBpe: accumulate d0 lower and *= bpe into Cin addr
v_cndmask_b32 v95, -1, v95, s[56:57]               // LDC clip if OOB. offset
buffer_load_ubyte v96, v95, s[sgprSrdC:sgprSrdC+3], 0, offen offset:0,  sc0 sc1 // load C for beta calc
_v_add_lshl_u32 v95, v3, v4, 0x0                   // scaleToBpe: accumulate d0 lower and *= bpe into Cin addr
v_cndmask_b32 v95, -1, v95, s[56:57]               // LDD clip if OOB. offset
/* (d1,vc1,d0,vc0)=(0,3,5,0) */
s_mov_b32 s52, 160                                 // coordOffset0 d0=5 vc0=0
	;; [unrolled: 11-line block ×3, first 2 shown]
_v_add_co_u32 v4, vcc, v0, s52                     // coord0.2: coord0 += d0*sg0*VW + vc0
v_cmp_lt_u32 s[52:53], v4, s[sgprSizeI]            // coord0 < size0
v_cmp_lt_u32 s[56:57], v1, s[sgprSizeJ]            // coord1 < size1
s_and_b64 s[56:57], s[52:53], s[56:57]             // in0 && in1
_v_add_lshl_u32 v101, v2, v4, 0x0                  // scaleToBpe: accumulate d0 lower and *= bpe into Cin addr
v_cndmask_b32 v101, -1, v101, s[56:57]             // LDC clip if OOB. offset
buffer_load_ubyte v102, v101, s[sgprSrdC:sgprSrdC+3], 0, offen offset:0,  sc0 sc1 // load C for beta calc
_v_add_lshl_u32 v101, v3, v4, 0x0                  // scaleToBpe: accumulate d0 lower and *= bpe into Cin addr
v_cndmask_b32 v101, -1, v101, s[56:57]             // LDD clip if OOB. offset
/* (d1,vc1,d0,vc0)=(0,3,7,0) */
s_mov_b32 s52, 224                                 // coordOffset0 d0=7 vc0=0
_v_add_co_u32 v4, vcc, v0, s52                     // coord0.2: coord0 += d0*sg0*VW + vc0
v_cmp_lt_u32 s[52:53], v4, s[sgprSizeI]            // coord0 < size0
v_cmp_lt_u32 s[56:57], v1, s[sgprSizeJ]            // coord1 < size1
s_and_b64 s[56:57], s[52:53], s[56:57]             // in0 && in1
_v_add_lshl_u32 v104, v2, v4, 0x0                  // scaleToBpe: accumulate d0 lower and *= bpe into Cin addr
v_cndmask_b32 v104, -1, v104, s[56:57]             // LDC clip if OOB. offset
buffer_load_ubyte v105, v104, s[sgprSrdC:sgprSrdC+3], 0, offen offset:0,  sc0 sc1 // load C for beta calc
_v_add_lshl_u32 v104, v3, v4, 0x0                  // scaleToBpe: accumulate d0 lower and *= bpe into Cin addr
v_cndmask_b32 v104, -1, v104, s[56:57]             // LDD clip if OOB. offset
/* (d1,vc1,d0,vc0)=(1,0,0,0) */
_v_add_co_u32 v1, vcc, v1, 5                       // coord1.1: coord1Vgpr += d1*sg1*VW + vc1

/* Fix for UseInitialStridesCD, emitAddressSetupCode */
s_mul_i32 s52, s[sgprStrideC1J], 5                 // scale stride
_v_add_u32 v2, v2, s52                             // ROWINC- Move cinRowPtr to next row
s_mul_i32 s52, s[sgprStrideD1J], 5                 // scale stride
_v_add_u32 v3, v3, s52                             // Move coutRowPtr to next row
v_cmp_lt_u32 s[52:53], v0, s[sgprSizeI]            // coord0 < size0
v_cmp_lt_u32 s[56:57], v1, s[sgprSizeJ]            // coord1 < size1
s_and_b64 s[56:57], s[52:53], s[56:57]             // in0 && in1
_v_add_lshl_u32 v107, v2, v0, 0x0                  // scaleToBpe: accumulate d0 lower and *= bpe into Cin addr
v_cndmask_b32 v107, -1, v107, s[56:57]             // LDC clip if OOB. offset
buffer_load_ubyte v108, v107, s[sgprSrdC:sgprSrdC+3], 0, offen offset:0,  sc0 sc1 // load C for beta calc
_v_add_lshl_u32 v107, v3, v0, 0x0                  // scaleToBpe: accumulate d0 lower and *= bpe into Cin addr
v_cndmask_b32 v107, -1, v107, s[56:57]             // LDD clip if OOB. offset
/* (d1,vc1,d0,vc0)=(1,0,1,0) */
_v_add_co_u32 v4, vcc, v0, 32                      // coord0.1: coord0 += d0*sg0*VW + vc0
v_cmp_lt_u32 s[52:53], v4, s[sgprSizeI]            // coord0 < size0
v_cmp_lt_u32 s[56:57], v1, s[sgprSizeJ]            // coord1 < size1
s_and_b64 s[56:57], s[52:53], s[56:57]             // in0 && in1
_v_add_lshl_u32 v110, v2, v4, 0x0                  // scaleToBpe: accumulate d0 lower and *= bpe into Cin addr
v_cndmask_b32 v110, -1, v110, s[56:57]             // LDC clip if OOB. offset
buffer_load_ubyte v111, v110, s[sgprSrdC:sgprSrdC+3], 0, offen offset:0,  sc0 sc1 // load C for beta calc
_v_add_lshl_u32 v110, v3, v4, 0x0                  // scaleToBpe: accumulate d0 lower and *= bpe into Cin addr
v_cndmask_b32 v110, -1, v110, s[56:57]             // LDD clip if OOB. offset
/* (d1,vc1,d0,vc0)=(1,0,2,0) */
_v_add_co_u32 v4, vcc, v0, 64                      // coord0.1: coord0 += d0*sg0*VW + vc0
v_cmp_lt_u32 s[52:53], v4, s[sgprSizeI]            // coord0 < size0
v_cmp_lt_u32 s[56:57], v1, s[sgprSizeJ]            // coord1 < size1
s_and_b64 s[56:57], s[52:53], s[56:57]             // in0 && in1
_v_add_lshl_u32 v113, v2, v4, 0x0                  // scaleToBpe: accumulate d0 lower and *= bpe into Cin addr
v_cndmask_b32 v113, -1, v113, s[56:57]             // LDC clip if OOB. offset
buffer_load_ubyte v114, v113, s[sgprSrdC:sgprSrdC+3], 0, offen offset:0,  sc0 sc1 // load C for beta calc
_v_add_lshl_u32 v113, v3, v4, 0x0                  // scaleToBpe: accumulate d0 lower and *= bpe into Cin addr
v_cndmask_b32 v113, -1, v113, s[56:57]             // LDD clip if OOB. offset
/* (d1,vc1,d0,vc0)=(1,0,3,0) */
s_mov_b32 s52, 96                                  // coordOffset0 d0=3 vc0=0
_v_add_co_u32 v4, vcc, v0, s52                     // coord0.2: coord0 += d0*sg0*VW + vc0
v_cmp_lt_u32 s[52:53], v4, s[sgprSizeI]            // coord0 < size0
v_cmp_lt_u32 s[56:57], v1, s[sgprSizeJ]            // coord1 < size1
s_and_b64 s[56:57], s[52:53], s[56:57]             // in0 && in1
_v_add_lshl_u32 v119, v2, v4, 0x0                  // scaleToBpe: accumulate d0 lower and *= bpe into Cin addr
v_cndmask_b32 v119, -1, v119, s[56:57]             // LDC clip if OOB. offset
buffer_load_ubyte v120, v119, s[sgprSrdC:sgprSrdC+3], 0, offen offset:0,  sc0 sc1 // load C for beta calc
_v_add_lshl_u32 v119, v3, v4, 0x0                  // scaleToBpe: accumulate d0 lower and *= bpe into Cin addr
v_cndmask_b32 v119, -1, v119, s[56:57]             // LDD clip if OOB. offset
/* (d1,vc1,d0,vc0)=(1,0,4,0) */
s_mov_b32 s52, 128                                 // coordOffset0 d0=4 vc0=0
_v_add_co_u32 v4, vcc, v0, s52                     // coord0.2: coord0 += d0*sg0*VW + vc0
v_cmp_lt_u32 s[52:53], v4, s[sgprSizeI]            // coord0 < size0
v_cmp_lt_u32 s[56:57], v1, s[sgprSizeJ]            // coord1 < size1
s_and_b64 s[56:57], s[52:53], s[56:57]             // in0 && in1
_v_add_lshl_u32 v122, v2, v4, 0x0                  // scaleToBpe: accumulate d0 lower and *= bpe into Cin addr
v_cndmask_b32 v122, -1, v122, s[56:57]             // LDC clip if OOB. offset
buffer_load_ubyte v123, v122, s[sgprSrdC:sgprSrdC+3], 0, offen offset:0,  sc0 sc1 // load C for beta calc
_v_add_lshl_u32 v122, v3, v4, 0x0                  // scaleToBpe: accumulate d0 lower and *= bpe into Cin addr
v_cndmask_b32 v122, -1, v122, s[56:57]             // LDD clip if OOB. offset
/* (d1,vc1,d0,vc0)=(1,0,5,0) */
s_mov_b32 s52, 160                                 // coordOffset0 d0=5 vc0=0
	;; [unrolled: 11-line block ×4, first 2 shown]
_v_add_co_u32 v4, vcc, v0, s52                     // coord0.2: coord0 += d0*sg0*VW + vc0
v_cmp_lt_u32 s[52:53], v4, s[sgprSizeI]            // coord0 < size0
v_cmp_lt_u32 s[56:57], v1, s[sgprSizeJ]            // coord1 < size1
s_and_b64 s[56:57], s[52:53], s[56:57]             // in0 && in1
_v_add_lshl_u32 v131, v2, v4, 0x0                  // scaleToBpe: accumulate d0 lower and *= bpe into Cin addr
v_cndmask_b32 v131, -1, v131, s[56:57]             // LDC clip if OOB. offset
buffer_load_ubyte v132, v131, s[sgprSrdC:sgprSrdC+3], 0, offen offset:0,  sc0 sc1 // load C for beta calc
_v_add_lshl_u32 v131, v3, v4, 0x0                  // scaleToBpe: accumulate d0 lower and *= bpe into Cin addr
v_cndmask_b32 v131, -1, v131, s[56:57]             // LDD clip if OOB. offset
/* (d1,vc1,d0,vc0)=(1,1,0,0) */
_v_add_co_u32 v1, vcc, v1, 1                       // coord1.1: coord1Vgpr += d1*sg1*VW + vc1

/* Fix for UseInitialStridesCD, emitAddressSetupCode */
_v_add_u32 v2, v2, s[sgprStrideC1J]                // ROWINC- Move cinRowPtr to next row
_v_add_u32 v3, v3, s[sgprStrideD1J]                // Move coutRowPtr to next row
v_cmp_lt_u32 s[52:53], v0, s[sgprSizeI]            // coord0 < size0
v_cmp_lt_u32 s[56:57], v1, s[sgprSizeJ]            // coord1 < size1
s_and_b64 s[56:57], s[52:53], s[56:57]             // in0 && in1
_v_add_lshl_u32 v134, v2, v0, 0x0                  // scaleToBpe: accumulate d0 lower and *= bpe into Cin addr
v_cndmask_b32 v134, -1, v134, s[56:57]             // LDC clip if OOB. offset
buffer_load_ubyte v135, v134, s[sgprSrdC:sgprSrdC+3], 0, offen offset:0,  sc0 sc1 // load C for beta calc
_v_add_lshl_u32 v134, v3, v0, 0x0                  // scaleToBpe: accumulate d0 lower and *= bpe into Cin addr
v_cndmask_b32 v134, -1, v134, s[56:57]             // LDD clip if OOB. offset
/* (d1,vc1,d0,vc0)=(1,1,1,0) */
_v_add_co_u32 v4, vcc, v0, 32                      // coord0.1: coord0 += d0*sg0*VW + vc0
v_cmp_lt_u32 s[52:53], v4, s[sgprSizeI]            // coord0 < size0
v_cmp_lt_u32 s[56:57], v1, s[sgprSizeJ]            // coord1 < size1
s_and_b64 s[56:57], s[52:53], s[56:57]             // in0 && in1
_v_add_lshl_u32 v137, v2, v4, 0x0                  // scaleToBpe: accumulate d0 lower and *= bpe into Cin addr
v_cndmask_b32 v137, -1, v137, s[56:57]             // LDC clip if OOB. offset
buffer_load_ubyte v138, v137, s[sgprSrdC:sgprSrdC+3], 0, offen offset:0,  sc0 sc1 // load C for beta calc
_v_add_lshl_u32 v137, v3, v4, 0x0                  // scaleToBpe: accumulate d0 lower and *= bpe into Cin addr
v_cndmask_b32 v137, -1, v137, s[56:57]             // LDD clip if OOB. offset
/* (d1,vc1,d0,vc0)=(1,1,2,0) */
_v_add_co_u32 v4, vcc, v0, 64                      // coord0.1: coord0 += d0*sg0*VW + vc0
v_cmp_lt_u32 s[52:53], v4, s[sgprSizeI]            // coord0 < size0
v_cmp_lt_u32 s[56:57], v1, s[sgprSizeJ]            // coord1 < size1
s_and_b64 s[56:57], s[52:53], s[56:57]             // in0 && in1
_v_add_lshl_u32 v140, v2, v4, 0x0                  // scaleToBpe: accumulate d0 lower and *= bpe into Cin addr
v_cndmask_b32 v140, -1, v140, s[56:57]             // LDC clip if OOB. offset
buffer_load_ubyte v141, v140, s[sgprSrdC:sgprSrdC+3], 0, offen offset:0,  sc0 sc1 // load C for beta calc
_v_add_lshl_u32 v140, v3, v4, 0x0                  // scaleToBpe: accumulate d0 lower and *= bpe into Cin addr
v_cndmask_b32 v140, -1, v140, s[56:57]             // LDD clip if OOB. offset
/* (d1,vc1,d0,vc0)=(1,1,3,0) */
s_mov_b32 s52, 96                                  // coordOffset0 d0=3 vc0=0
_v_add_co_u32 v4, vcc, v0, s52                     // coord0.2: coord0 += d0*sg0*VW + vc0
v_cmp_lt_u32 s[52:53], v4, s[sgprSizeI]            // coord0 < size0
v_cmp_lt_u32 s[56:57], v1, s[sgprSizeJ]            // coord1 < size1
s_and_b64 s[56:57], s[52:53], s[56:57]             // in0 && in1
_v_add_lshl_u32 v143, v2, v4, 0x0                  // scaleToBpe: accumulate d0 lower and *= bpe into Cin addr
v_cndmask_b32 v143, -1, v143, s[56:57]             // LDC clip if OOB. offset
buffer_load_ubyte v144, v143, s[sgprSrdC:sgprSrdC+3], 0, offen offset:0,  sc0 sc1 // load C for beta calc
_v_add_lshl_u32 v143, v3, v4, 0x0                  // scaleToBpe: accumulate d0 lower and *= bpe into Cin addr
v_cndmask_b32 v143, -1, v143, s[56:57]             // LDD clip if OOB. offset
/* (d1,vc1,d0,vc0)=(1,1,4,0) */
s_mov_b32 s52, 128                                 // coordOffset0 d0=4 vc0=0
_v_add_co_u32 v4, vcc, v0, s52                     // coord0.2: coord0 += d0*sg0*VW + vc0
v_cmp_lt_u32 s[52:53], v4, s[sgprSizeI]            // coord0 < size0
v_cmp_lt_u32 s[56:57], v1, s[sgprSizeJ]            // coord1 < size1
s_and_b64 s[56:57], s[52:53], s[56:57]             // in0 && in1
_v_add_lshl_u32 v146, v2, v4, 0x0                  // scaleToBpe: accumulate d0 lower and *= bpe into Cin addr
v_cndmask_b32 v146, -1, v146, s[56:57]             // LDC clip if OOB. offset
buffer_load_ubyte v147, v146, s[sgprSrdC:sgprSrdC+3], 0, offen offset:0,  sc0 sc1 // load C for beta calc
_v_add_lshl_u32 v146, v3, v4, 0x0                  // scaleToBpe: accumulate d0 lower and *= bpe into Cin addr
v_cndmask_b32 v146, -1, v146, s[56:57]             // LDD clip if OOB. offset
/* (d1,vc1,d0,vc0)=(1,1,5,0) */
s_mov_b32 s52, 160                                 // coordOffset0 d0=5 vc0=0
	;; [unrolled: 11-line block ×4, first 2 shown]
_v_add_co_u32 v4, vcc, v0, s52                     // coord0.2: coord0 += d0*sg0*VW + vc0
v_cmp_lt_u32 s[52:53], v4, s[sgprSizeI]            // coord0 < size0
v_cmp_lt_u32 s[56:57], v1, s[sgprSizeJ]            // coord1 < size1
s_and_b64 s[56:57], s[52:53], s[56:57]             // in0 && in1
_v_add_lshl_u32 v155, v2, v4, 0x0                  // scaleToBpe: accumulate d0 lower and *= bpe into Cin addr
v_cndmask_b32 v155, -1, v155, s[56:57]             // LDC clip if OOB. offset
buffer_load_ubyte v156, v155, s[sgprSrdC:sgprSrdC+3], 0, offen offset:0,  sc0 sc1 // load C for beta calc
_v_add_lshl_u32 v155, v3, v4, 0x0                  // scaleToBpe: accumulate d0 lower and *= bpe into Cin addr
v_cndmask_b32 v155, -1, v155, s[56:57]             // LDD clip if OOB. offset
/* (d1,vc1,d0,vc0)=(1,2,0,0) */
_v_add_co_u32 v1, vcc, v1, 1                       // coord1.1: coord1Vgpr += d1*sg1*VW + vc1

/* Fix for UseInitialStridesCD, emitAddressSetupCode */
_v_add_u32 v2, v2, s[sgprStrideC1J]                // ROWINC- Move cinRowPtr to next row
_v_add_u32 v3, v3, s[sgprStrideD1J]                // Move coutRowPtr to next row
v_cmp_lt_u32 s[52:53], v0, s[sgprSizeI]            // coord0 < size0
v_cmp_lt_u32 s[56:57], v1, s[sgprSizeJ]            // coord1 < size1
s_and_b64 s[56:57], s[52:53], s[56:57]             // in0 && in1
_v_add_lshl_u32 v158, v2, v0, 0x0                  // scaleToBpe: accumulate d0 lower and *= bpe into Cin addr
v_cndmask_b32 v158, -1, v158, s[56:57]             // LDC clip if OOB. offset
buffer_load_ubyte v159, v158, s[sgprSrdC:sgprSrdC+3], 0, offen offset:0,  sc0 sc1 // load C for beta calc
_v_add_lshl_u32 v158, v3, v0, 0x0                  // scaleToBpe: accumulate d0 lower and *= bpe into Cin addr
v_cndmask_b32 v158, -1, v158, s[56:57]             // LDD clip if OOB. offset
/* (d1,vc1,d0,vc0)=(1,2,1,0) */
_v_add_co_u32 v4, vcc, v0, 32                      // coord0.1: coord0 += d0*sg0*VW + vc0
v_cmp_lt_u32 s[52:53], v4, s[sgprSizeI]            // coord0 < size0
v_cmp_lt_u32 s[56:57], v1, s[sgprSizeJ]            // coord1 < size1
s_and_b64 s[56:57], s[52:53], s[56:57]             // in0 && in1
_v_add_lshl_u32 v161, v2, v4, 0x0                  // scaleToBpe: accumulate d0 lower and *= bpe into Cin addr
v_cndmask_b32 v161, -1, v161, s[56:57]             // LDC clip if OOB. offset
buffer_load_ubyte v162, v161, s[sgprSrdC:sgprSrdC+3], 0, offen offset:0,  sc0 sc1 // load C for beta calc
_v_add_lshl_u32 v161, v3, v4, 0x0                  // scaleToBpe: accumulate d0 lower and *= bpe into Cin addr
v_cndmask_b32 v161, -1, v161, s[56:57]             // LDD clip if OOB. offset
/* (d1,vc1,d0,vc0)=(1,2,2,0) */
_v_add_co_u32 v4, vcc, v0, 64                      // coord0.1: coord0 += d0*sg0*VW + vc0
v_cmp_lt_u32 s[52:53], v4, s[sgprSizeI]            // coord0 < size0
v_cmp_lt_u32 s[56:57], v1, s[sgprSizeJ]            // coord1 < size1
s_and_b64 s[56:57], s[52:53], s[56:57]             // in0 && in1
_v_add_lshl_u32 v164, v2, v4, 0x0                  // scaleToBpe: accumulate d0 lower and *= bpe into Cin addr
v_cndmask_b32 v164, -1, v164, s[56:57]             // LDC clip if OOB. offset
buffer_load_ubyte v165, v164, s[sgprSrdC:sgprSrdC+3], 0, offen offset:0,  sc0 sc1 // load C for beta calc
_v_add_lshl_u32 v164, v3, v4, 0x0                  // scaleToBpe: accumulate d0 lower and *= bpe into Cin addr
v_cndmask_b32 v164, -1, v164, s[56:57]             // LDD clip if OOB. offset
/* (d1,vc1,d0,vc0)=(1,2,3,0) */
s_mov_b32 s52, 96                                  // coordOffset0 d0=3 vc0=0
_v_add_co_u32 v4, vcc, v0, s52                     // coord0.2: coord0 += d0*sg0*VW + vc0
v_cmp_lt_u32 s[52:53], v4, s[sgprSizeI]            // coord0 < size0
v_cmp_lt_u32 s[56:57], v1, s[sgprSizeJ]            // coord1 < size1
s_and_b64 s[56:57], s[52:53], s[56:57]             // in0 && in1
_v_add_lshl_u32 v167, v2, v4, 0x0                  // scaleToBpe: accumulate d0 lower and *= bpe into Cin addr
v_cndmask_b32 v167, -1, v167, s[56:57]             // LDC clip if OOB. offset
buffer_load_ubyte v168, v167, s[sgprSrdC:sgprSrdC+3], 0, offen offset:0,  sc0 sc1 // load C for beta calc
_v_add_lshl_u32 v167, v3, v4, 0x0                  // scaleToBpe: accumulate d0 lower and *= bpe into Cin addr
v_cndmask_b32 v167, -1, v167, s[56:57]             // LDD clip if OOB. offset
/* (d1,vc1,d0,vc0)=(1,2,4,0) */
s_mov_b32 s52, 128                                 // coordOffset0 d0=4 vc0=0
_v_add_co_u32 v4, vcc, v0, s52                     // coord0.2: coord0 += d0*sg0*VW + vc0
v_cmp_lt_u32 s[52:53], v4, s[sgprSizeI]            // coord0 < size0
v_cmp_lt_u32 s[56:57], v1, s[sgprSizeJ]            // coord1 < size1
s_and_b64 s[56:57], s[52:53], s[56:57]             // in0 && in1
_v_add_lshl_u32 v170, v2, v4, 0x0                  // scaleToBpe: accumulate d0 lower and *= bpe into Cin addr
v_cndmask_b32 v170, -1, v170, s[56:57]             // LDC clip if OOB. offset
buffer_load_ubyte v171, v170, s[sgprSrdC:sgprSrdC+3], 0, offen offset:0,  sc0 sc1 // load C for beta calc
_v_add_lshl_u32 v170, v3, v4, 0x0                  // scaleToBpe: accumulate d0 lower and *= bpe into Cin addr
v_cndmask_b32 v170, -1, v170, s[56:57]             // LDD clip if OOB. offset
/* (d1,vc1,d0,vc0)=(1,2,5,0) */
s_mov_b32 s52, 160                                 // coordOffset0 d0=5 vc0=0
	;; [unrolled: 11-line block ×4, first 2 shown]
_v_add_co_u32 v4, vcc, v0, s52                     // coord0.2: coord0 += d0*sg0*VW + vc0
v_cmp_lt_u32 s[52:53], v4, s[sgprSizeI]            // coord0 < size0
v_cmp_lt_u32 s[56:57], v1, s[sgprSizeJ]            // coord1 < size1
s_and_b64 s[56:57], s[52:53], s[56:57]             // in0 && in1
_v_add_lshl_u32 v179, v2, v4, 0x0                  // scaleToBpe: accumulate d0 lower and *= bpe into Cin addr
v_cndmask_b32 v179, -1, v179, s[56:57]             // LDC clip if OOB. offset
buffer_load_ubyte v180, v179, s[sgprSrdC:sgprSrdC+3], 0, offen offset:0,  sc0 sc1 // load C for beta calc
_v_add_lshl_u32 v179, v3, v4, 0x0                  // scaleToBpe: accumulate d0 lower and *= bpe into Cin addr
v_cndmask_b32 v179, -1, v179, s[56:57]             // LDD clip if OOB. offset
/* (d1,vc1,d0,vc0)=(1,3,0,0) */
_v_add_co_u32 v1, vcc, v1, 1                       // coord1.1: coord1Vgpr += d1*sg1*VW + vc1

/* Fix for UseInitialStridesCD, emitAddressSetupCode */
_v_add_u32 v2, v2, s[sgprStrideC1J]                // ROWINC- Move cinRowPtr to next row
_v_add_u32 v3, v3, s[sgprStrideD1J]                // Move coutRowPtr to next row
v_cmp_lt_u32 s[52:53], v0, s[sgprSizeI]            // coord0 < size0
v_cmp_lt_u32 s[56:57], v1, s[sgprSizeJ]            // coord1 < size1
s_and_b64 s[56:57], s[52:53], s[56:57]             // in0 && in1
_v_add_lshl_u32 v182, v2, v0, 0x0                  // scaleToBpe: accumulate d0 lower and *= bpe into Cin addr
v_cndmask_b32 v182, -1, v182, s[56:57]             // LDC clip if OOB. offset
buffer_load_ubyte v183, v182, s[sgprSrdC:sgprSrdC+3], 0, offen offset:0,  sc0 sc1 // load C for beta calc
_v_add_lshl_u32 v182, v3, v0, 0x0                  // scaleToBpe: accumulate d0 lower and *= bpe into Cin addr
v_cndmask_b32 v182, -1, v182, s[56:57]             // LDD clip if OOB. offset
/* (d1,vc1,d0,vc0)=(1,3,1,0) */
_v_add_co_u32 v4, vcc, v0, 32                      // coord0.1: coord0 += d0*sg0*VW + vc0
v_cmp_lt_u32 s[52:53], v4, s[sgprSizeI]            // coord0 < size0
v_cmp_lt_u32 s[56:57], v1, s[sgprSizeJ]            // coord1 < size1
s_and_b64 s[56:57], s[52:53], s[56:57]             // in0 && in1
_v_add_lshl_u32 v185, v2, v4, 0x0                  // scaleToBpe: accumulate d0 lower and *= bpe into Cin addr
v_cndmask_b32 v185, -1, v185, s[56:57]             // LDC clip if OOB. offset
buffer_load_ubyte v186, v185, s[sgprSrdC:sgprSrdC+3], 0, offen offset:0,  sc0 sc1 // load C for beta calc
_v_add_lshl_u32 v185, v3, v4, 0x0                  // scaleToBpe: accumulate d0 lower and *= bpe into Cin addr
v_cndmask_b32 v185, -1, v185, s[56:57]             // LDD clip if OOB. offset
/* (d1,vc1,d0,vc0)=(1,3,2,0) */
_v_add_co_u32 v4, vcc, v0, 64                      // coord0.1: coord0 += d0*sg0*VW + vc0
v_cmp_lt_u32 s[52:53], v4, s[sgprSizeI]            // coord0 < size0
v_cmp_lt_u32 s[56:57], v1, s[sgprSizeJ]            // coord1 < size1
s_and_b64 s[56:57], s[52:53], s[56:57]             // in0 && in1
_v_add_lshl_u32 v188, v2, v4, 0x0                  // scaleToBpe: accumulate d0 lower and *= bpe into Cin addr
v_cndmask_b32 v188, -1, v188, s[56:57]             // LDC clip if OOB. offset
buffer_load_ubyte v189, v188, s[sgprSrdC:sgprSrdC+3], 0, offen offset:0,  sc0 sc1 // load C for beta calc
_v_add_lshl_u32 v188, v3, v4, 0x0                  // scaleToBpe: accumulate d0 lower and *= bpe into Cin addr
v_cndmask_b32 v188, -1, v188, s[56:57]             // LDD clip if OOB. offset
/* (d1,vc1,d0,vc0)=(1,3,3,0) */
s_mov_b32 s52, 96                                  // coordOffset0 d0=3 vc0=0
_v_add_co_u32 v4, vcc, v0, s52                     // coord0.2: coord0 += d0*sg0*VW + vc0
v_cmp_lt_u32 s[52:53], v4, s[sgprSizeI]            // coord0 < size0
v_cmp_lt_u32 s[56:57], v1, s[sgprSizeJ]            // coord1 < size1
s_and_b64 s[56:57], s[52:53], s[56:57]             // in0 && in1
_v_add_lshl_u32 v191, v2, v4, 0x0                  // scaleToBpe: accumulate d0 lower and *= bpe into Cin addr
v_cndmask_b32 v191, -1, v191, s[56:57]             // LDC clip if OOB. offset
buffer_load_ubyte v192, v191, s[sgprSrdC:sgprSrdC+3], 0, offen offset:0,  sc0 sc1 // load C for beta calc
_v_add_lshl_u32 v191, v3, v4, 0x0                  // scaleToBpe: accumulate d0 lower and *= bpe into Cin addr
v_cndmask_b32 v191, -1, v191, s[56:57]             // LDD clip if OOB. offset
/* (d1,vc1,d0,vc0)=(1,3,4,0) */
s_mov_b32 s52, 128                                 // coordOffset0 d0=4 vc0=0
_v_add_co_u32 v4, vcc, v0, s52                     // coord0.2: coord0 += d0*sg0*VW + vc0
v_cmp_lt_u32 s[52:53], v4, s[sgprSizeI]            // coord0 < size0
v_cmp_lt_u32 s[56:57], v1, s[sgprSizeJ]            // coord1 < size1
s_and_b64 s[56:57], s[52:53], s[56:57]             // in0 && in1
_v_add_lshl_u32 v194, v2, v4, 0x0                  // scaleToBpe: accumulate d0 lower and *= bpe into Cin addr
v_cndmask_b32 v194, -1, v194, s[56:57]             // LDC clip if OOB. offset
buffer_load_ubyte v195, v194, s[sgprSrdC:sgprSrdC+3], 0, offen offset:0,  sc0 sc1 // load C for beta calc
_v_add_lshl_u32 v194, v3, v4, 0x0                  // scaleToBpe: accumulate d0 lower and *= bpe into Cin addr
v_cndmask_b32 v194, -1, v194, s[56:57]             // LDD clip if OOB. offset
/* (d1,vc1,d0,vc0)=(1,3,5,0) */
s_mov_b32 s52, 160                                 // coordOffset0 d0=5 vc0=0
	;; [unrolled: 11-line block ×4, first 2 shown]
_v_add_co_u32 v4, vcc, v0, s52                     // coord0.2: coord0 += d0*sg0*VW + vc0
v_cmp_lt_u32 s[52:53], v4, s[sgprSizeI]            // coord0 < size0
v_cmp_lt_u32 s[56:57], v1, s[sgprSizeJ]            // coord1 < size1
s_and_b64 s[56:57], s[52:53], s[56:57]             // in0 && in1
_v_add_lshl_u32 v203, v2, v4, 0x0                  // scaleToBpe: accumulate d0 lower and *= bpe into Cin addr
v_cndmask_b32 v203, -1, v203, s[56:57]             // LDC clip if OOB. offset
buffer_load_ubyte v204, v203, s[sgprSrdC:sgprSrdC+3], 0, offen offset:0,  sc0 sc1 // load C for beta calc
_v_add_lshl_u32 v203, v3, v4, 0x0                  // scaleToBpe: accumulate d0 lower and *= bpe into Cin addr
v_cndmask_b32 v203, -1, v203, s[56:57]             // LDD clip if OOB. offset
/* (d1,vc1,d0,vc0)=(2,0,0,0) */
_v_add_co_u32 v1, vcc, v1, 5                       // coord1.1: coord1Vgpr += d1*sg1*VW + vc1

/* Fix for UseInitialStridesCD, emitAddressSetupCode */
s_mul_i32 s52, s[sgprStrideC1J], 5                 // scale stride
_v_add_u32 v2, v2, s52                             // ROWINC- Move cinRowPtr to next row
s_mul_i32 s52, s[sgprStrideD1J], 5                 // scale stride
_v_add_u32 v3, v3, s52                             // Move coutRowPtr to next row
v_cmp_lt_u32 s[52:53], v0, s[sgprSizeI]            // coord0 < size0
v_cmp_lt_u32 s[56:57], v1, s[sgprSizeJ]            // coord1 < size1
s_and_b64 s[56:57], s[52:53], s[56:57]             // in0 && in1
_v_add_lshl_u32 v206, v2, v0, 0x0                  // scaleToBpe: accumulate d0 lower and *= bpe into Cin addr
v_cndmask_b32 v206, -1, v206, s[56:57]             // LDC clip if OOB. offset
buffer_load_ubyte v207, v206, s[sgprSrdC:sgprSrdC+3], 0, offen offset:0,  sc0 sc1 // load C for beta calc
_v_add_lshl_u32 v206, v3, v0, 0x0                  // scaleToBpe: accumulate d0 lower and *= bpe into Cin addr
v_cndmask_b32 v206, -1, v206, s[56:57]             // LDD clip if OOB. offset
/* (d1,vc1,d0,vc0)=(2,0,1,0) */
_v_add_co_u32 v4, vcc, v0, 32                      // coord0.1: coord0 += d0*sg0*VW + vc0
v_cmp_lt_u32 s[52:53], v4, s[sgprSizeI]            // coord0 < size0
v_cmp_lt_u32 s[56:57], v1, s[sgprSizeJ]            // coord1 < size1
s_and_b64 s[56:57], s[52:53], s[56:57]             // in0 && in1
_v_add_lshl_u32 v209, v2, v4, 0x0                  // scaleToBpe: accumulate d0 lower and *= bpe into Cin addr
v_cndmask_b32 v209, -1, v209, s[56:57]             // LDC clip if OOB. offset
buffer_load_ubyte v210, v209, s[sgprSrdC:sgprSrdC+3], 0, offen offset:0,  sc0 sc1 // load C for beta calc
_v_add_lshl_u32 v209, v3, v4, 0x0                  // scaleToBpe: accumulate d0 lower and *= bpe into Cin addr
v_cndmask_b32 v209, -1, v209, s[56:57]             // LDD clip if OOB. offset
/* (d1,vc1,d0,vc0)=(2,0,2,0) */
_v_add_co_u32 v4, vcc, v0, 64                      // coord0.1: coord0 += d0*sg0*VW + vc0
v_cmp_lt_u32 s[52:53], v4, s[sgprSizeI]            // coord0 < size0
v_cmp_lt_u32 s[56:57], v1, s[sgprSizeJ]            // coord1 < size1
s_and_b64 s[56:57], s[52:53], s[56:57]             // in0 && in1
_v_add_lshl_u32 v212, v2, v4, 0x0                  // scaleToBpe: accumulate d0 lower and *= bpe into Cin addr
v_cndmask_b32 v212, -1, v212, s[56:57]             // LDC clip if OOB. offset
buffer_load_ubyte v213, v212, s[sgprSrdC:sgprSrdC+3], 0, offen offset:0,  sc0 sc1 // load C for beta calc
_v_add_lshl_u32 v212, v3, v4, 0x0                  // scaleToBpe: accumulate d0 lower and *= bpe into Cin addr
v_cndmask_b32 v212, -1, v212, s[56:57]             // LDD clip if OOB. offset
/* (d1,vc1,d0,vc0)=(2,0,3,0) */
s_mov_b32 s52, 96                                  // coordOffset0 d0=3 vc0=0
_v_add_co_u32 v4, vcc, v0, s52                     // coord0.2: coord0 += d0*sg0*VW + vc0
v_cmp_lt_u32 s[52:53], v4, s[sgprSizeI]            // coord0 < size0
v_cmp_lt_u32 s[56:57], v1, s[sgprSizeJ]            // coord1 < size1
s_and_b64 s[56:57], s[52:53], s[56:57]             // in0 && in1
_v_add_lshl_u32 v215, v2, v4, 0x0                  // scaleToBpe: accumulate d0 lower and *= bpe into Cin addr
v_cndmask_b32 v215, -1, v215, s[56:57]             // LDC clip if OOB. offset
buffer_load_ubyte v216, v215, s[sgprSrdC:sgprSrdC+3], 0, offen offset:0,  sc0 sc1 // load C for beta calc
_v_add_lshl_u32 v215, v3, v4, 0x0                  // scaleToBpe: accumulate d0 lower and *= bpe into Cin addr
v_cndmask_b32 v215, -1, v215, s[56:57]             // LDD clip if OOB. offset
/* (d1,vc1,d0,vc0)=(2,0,4,0) */
s_mov_b32 s52, 128                                 // coordOffset0 d0=4 vc0=0
_v_add_co_u32 v4, vcc, v0, s52                     // coord0.2: coord0 += d0*sg0*VW + vc0
v_cmp_lt_u32 s[52:53], v4, s[sgprSizeI]            // coord0 < size0
v_cmp_lt_u32 s[56:57], v1, s[sgprSizeJ]            // coord1 < size1
s_and_b64 s[56:57], s[52:53], s[56:57]             // in0 && in1
_v_add_lshl_u32 v218, v2, v4, 0x0                  // scaleToBpe: accumulate d0 lower and *= bpe into Cin addr
v_cndmask_b32 v218, -1, v218, s[56:57]             // LDC clip if OOB. offset
buffer_load_ubyte v219, v218, s[sgprSrdC:sgprSrdC+3], 0, offen offset:0,  sc0 sc1 // load C for beta calc
_v_add_lshl_u32 v218, v3, v4, 0x0                  // scaleToBpe: accumulate d0 lower and *= bpe into Cin addr
v_cndmask_b32 v218, -1, v218, s[56:57]             // LDD clip if OOB. offset
/* (d1,vc1,d0,vc0)=(2,0,5,0) */
s_mov_b32 s52, 160                                 // coordOffset0 d0=5 vc0=0
_v_add_co_u32 v4, vcc, v0, s52                     // coord0.2: coord0 += d0*sg0*VW + vc0
v_cmp_lt_u32 s[52:53], v4, s[sgprSizeI]            // coord0 < size0
v_cmp_lt_u32 s[56:57], v1, s[sgprSizeJ]            // coord1 < size1
s_and_b64 s[56:57], s[52:53], s[56:57]             // in0 && in1
_v_add_lshl_u32 v221, v2, v4, 0x0                  // scaleToBpe: accumulate d0 lower and *= bpe into Cin addr
v_cndmask_b32 v221, -1, v221, s[56:57]             // LDC clip if OOB. offset
buffer_load_ubyte v222, v221, s[sgprSrdC:sgprSrdC+3], 0, offen offset:0,  sc0 sc1 // load C for beta calc
_v_add_lshl_u32 v221, v3, v4, 0x0                  // scaleToBpe: accumulate d0 lower and *= bpe into Cin addr
v_cndmask_b32 v221, -1, v221, s[56:57]             // LDD clip if OOB. offset
/* (d1,vc1,d0,vc0)=(2,0,6,0) */
s_mov_b32 s52, 192                                 // coordOffset0 d0=6 vc0=0
_v_add_co_u32 v4, vcc, v0, s52                     // coord0.2: coord0 += d0*sg0*VW + vc0
v_cmp_lt_u32 s[52:53], v4, s[sgprSizeI]            // coord0 < size0
v_cmp_lt_u32 s[56:57], v1, s[sgprSizeJ]            // coord1 < size1
s_and_b64 s[56:57], s[52:53], s[56:57]             // in0 && in1
_v_add_lshl_u32 v224, v2, v4, 0x0                  // scaleToBpe: accumulate d0 lower and *= bpe into Cin addr
v_cndmask_b32 v224, -1, v224, s[56:57]             // LDC clip if OOB. offset
buffer_load_ubyte v225, v224, s[sgprSrdC:sgprSrdC+3], 0, offen offset:0,  sc0 sc1 // load C for beta calc
_v_add_lshl_u32 v224, v3, v4, 0x0                  // scaleToBpe: accumulate d0 lower and *= bpe into Cin addr
v_cndmask_b32 v224, -1, v224, s[56:57]             // LDD clip if OOB. offset
/* (d1,vc1,d0,vc0)=(2,0,7,0) */
s_mov_b32 s52, 224                                 // coordOffset0 d0=7 vc0=0
_v_add_co_u32 v4, vcc, v0, s52                     // coord0.2: coord0 += d0*sg0*VW + vc0
v_cmp_lt_u32 s[52:53], v4, s[sgprSizeI]            // coord0 < size0
v_cmp_lt_u32 s[56:57], v1, s[sgprSizeJ]            // coord1 < size1
s_and_b64 s[56:57], s[52:53], s[56:57]             // in0 && in1
_v_add_lshl_u32 v227, v2, v4, 0x0                  // scaleToBpe: accumulate d0 lower and *= bpe into Cin addr
v_cndmask_b32 v227, -1, v227, s[56:57]             // LDC clip if OOB. offset
buffer_load_ubyte v228, v227, s[sgprSrdC:sgprSrdC+3], 0, offen offset:0,  sc0 sc1 // load C for beta calc
_v_add_lshl_u32 v227, v3, v4, 0x0                  // scaleToBpe: accumulate d0 lower and *= bpe into Cin addr
v_cndmask_b32 v227, -1, v227, s[56:57]             // LDD clip if OOB. offset
/* (d1,vc1,d0,vc0)=(2,1,0,0) */
_v_add_co_u32 v1, vcc, v1, 1                       // coord1.1: coord1Vgpr += d1*sg1*VW + vc1

/* Fix for UseInitialStridesCD, emitAddressSetupCode */
_v_add_u32 v2, v2, s[sgprStrideC1J]                // ROWINC- Move cinRowPtr to next row
_v_add_u32 v3, v3, s[sgprStrideD1J]                // Move coutRowPtr to next row
v_cmp_lt_u32 s[52:53], v0, s[sgprSizeI]            // coord0 < size0
v_cmp_lt_u32 s[56:57], v1, s[sgprSizeJ]            // coord1 < size1
s_and_b64 s[56:57], s[52:53], s[56:57]             // in0 && in1
_v_add_lshl_u32 v230, v2, v0, 0x0                  // scaleToBpe: accumulate d0 lower and *= bpe into Cin addr
v_cndmask_b32 v230, -1, v230, s[56:57]             // LDC clip if OOB. offset
buffer_load_ubyte v231, v230, s[sgprSrdC:sgprSrdC+3], 0, offen offset:0,  sc0 sc1 // load C for beta calc
_v_add_lshl_u32 v230, v3, v0, 0x0                  // scaleToBpe: accumulate d0 lower and *= bpe into Cin addr
v_cndmask_b32 v230, -1, v230, s[56:57]             // LDD clip if OOB. offset
/* (d1,vc1,d0,vc0)=(2,1,1,0) */
_v_add_co_u32 v4, vcc, v0, 32                      // coord0.1: coord0 += d0*sg0*VW + vc0
v_cmp_lt_u32 s[52:53], v4, s[sgprSizeI]            // coord0 < size0
v_cmp_lt_u32 s[56:57], v1, s[sgprSizeJ]            // coord1 < size1
s_and_b64 s[56:57], s[52:53], s[56:57]             // in0 && in1
_v_add_lshl_u32 v233, v2, v4, 0x0                  // scaleToBpe: accumulate d0 lower and *= bpe into Cin addr
v_cndmask_b32 v233, -1, v233, s[56:57]             // LDC clip if OOB. offset
buffer_load_ubyte v234, v233, s[sgprSrdC:sgprSrdC+3], 0, offen offset:0,  sc0 sc1 // load C for beta calc
_v_add_lshl_u32 v233, v3, v4, 0x0                  // scaleToBpe: accumulate d0 lower and *= bpe into Cin addr
v_cndmask_b32 v233, -1, v233, s[56:57]             // LDD clip if OOB. offset
/* (d1,vc1,d0,vc0)=(2,1,2,0) */
_v_add_co_u32 v4, vcc, v0, 64                      // coord0.1: coord0 += d0*sg0*VW + vc0
v_cmp_lt_u32 s[52:53], v4, s[sgprSizeI]            // coord0 < size0
v_cmp_lt_u32 s[56:57], v1, s[sgprSizeJ]            // coord1 < size1
s_and_b64 s[56:57], s[52:53], s[56:57]             // in0 && in1
_v_add_lshl_u32 v236, v2, v4, 0x0                  // scaleToBpe: accumulate d0 lower and *= bpe into Cin addr
v_cndmask_b32 v236, -1, v236, s[56:57]             // LDC clip if OOB. offset
buffer_load_ubyte v237, v236, s[sgprSrdC:sgprSrdC+3], 0, offen offset:0,  sc0 sc1 // load C for beta calc
_v_add_lshl_u32 v236, v3, v4, 0x0                  // scaleToBpe: accumulate d0 lower and *= bpe into Cin addr
v_cndmask_b32 v236, -1, v236, s[56:57]             // LDD clip if OOB. offset
/* (d1,vc1,d0,vc0)=(2,1,3,0) */
s_mov_b32 s52, 96                                  // coordOffset0 d0=3 vc0=0
_v_add_co_u32 v4, vcc, v0, s52                     // coord0.2: coord0 += d0*sg0*VW + vc0
v_cmp_lt_u32 s[52:53], v4, s[sgprSizeI]            // coord0 < size0
v_cmp_lt_u32 s[56:57], v1, s[sgprSizeJ]            // coord1 < size1
s_and_b64 s[56:57], s[52:53], s[56:57]             // in0 && in1
_v_add_lshl_u32 v239, v2, v4, 0x0                  // scaleToBpe: accumulate d0 lower and *= bpe into Cin addr
v_cndmask_b32 v239, -1, v239, s[56:57]             // LDC clip if OOB. offset
buffer_load_ubyte v240, v239, s[sgprSrdC:sgprSrdC+3], 0, offen offset:0,  sc0 sc1 // load C for beta calc
_v_add_lshl_u32 v239, v3, v4, 0x0                  // scaleToBpe: accumulate d0 lower and *= bpe into Cin addr
v_cndmask_b32 v239, -1, v239, s[56:57]             // LDD clip if OOB. offset
/* (d1,vc1,d0,vc0)=(2,1,4,0) */
s_mov_b32 s52, 128                                 // coordOffset0 d0=4 vc0=0
_v_add_co_u32 v4, vcc, v0, s52                     // coord0.2: coord0 += d0*sg0*VW + vc0
v_cmp_lt_u32 s[52:53], v4, s[sgprSizeI]            // coord0 < size0
v_cmp_lt_u32 s[56:57], v1, s[sgprSizeJ]            // coord1 < size1
s_and_b64 s[56:57], s[52:53], s[56:57]             // in0 && in1
_v_add_lshl_u32 v242, v2, v4, 0x0                  // scaleToBpe: accumulate d0 lower and *= bpe into Cin addr
v_cndmask_b32 v242, -1, v242, s[56:57]             // LDC clip if OOB. offset
buffer_load_ubyte v243, v242, s[sgprSrdC:sgprSrdC+3], 0, offen offset:0,  sc0 sc1 // load C for beta calc
_v_add_lshl_u32 v242, v3, v4, 0x0                  // scaleToBpe: accumulate d0 lower and *= bpe into Cin addr
v_cndmask_b32 v242, -1, v242, s[56:57]             // LDD clip if OOB. offset
/* (d1,vc1,d0,vc0)=(2,1,5,0) */
s_mov_b32 s52, 160                                 // coordOffset0 d0=5 vc0=0
	;; [unrolled: 11-line block ×4, first 2 shown]
_v_add_co_u32 v4, vcc, v0, s52                     // coord0.2: coord0 += d0*sg0*VW + vc0
v_cmp_lt_u32 s[52:53], v4, s[sgprSizeI]            // coord0 < size0
v_cmp_lt_u32 s[56:57], v1, s[sgprSizeJ]            // coord1 < size1
s_and_b64 s[56:57], s[52:53], s[56:57]             // in0 && in1
_v_add_lshl_u32 v251, v2, v4, 0x0                  // scaleToBpe: accumulate d0 lower and *= bpe into Cin addr
v_cndmask_b32 v251, -1, v251, s[56:57]             // LDC clip if OOB. offset
buffer_load_ubyte v252, v251, s[sgprSrdC:sgprSrdC+3], 0, offen offset:0,  sc0 sc1 // load C for beta calc
_v_add_lshl_u32 v251, v3, v4, 0x0                  // scaleToBpe: accumulate d0 lower and *= bpe into Cin addr
v_cndmask_b32 v251, -1, v251, s[56:57]             // LDD clip if OOB. offset
s_sleep 3 // optimization: sync and wait
s_barrier
v_accvgpr_read_b32 v[vgprValuC+13], acc0 // copy acc to vreg[0]
v_accvgpr_read_b32 v[vgprValuC+16], acc16 // copy acc to vreg[1]
v_accvgpr_read_b32 v[vgprValuC+19], acc32 // copy acc to vreg[2]
v_accvgpr_read_b32 v[vgprValuC+22], acc48 // copy acc to vreg[3]
v_accvgpr_read_b32 v[vgprValuC+25], acc64 // copy acc to vreg[4]
v_accvgpr_read_b32 v[vgprValuC+28], acc80 // copy acc to vreg[5]
v_accvgpr_read_b32 v[vgprValuC+31], acc96 // copy acc to vreg[6]
v_accvgpr_read_b32 v[vgprValuC+34], acc112 // copy acc to vreg[7]
v_accvgpr_read_b32 v[vgprValuC+37], acc1 // copy acc to vreg[8]
v_accvgpr_read_b32 v[vgprValuC+40], acc17 // copy acc to vreg[9]
v_accvgpr_read_b32 v[vgprValuC+43], acc33 // copy acc to vreg[10]
v_accvgpr_read_b32 v[vgprValuC+46], acc49 // copy acc to vreg[11]
v_accvgpr_read_b32 v[vgprValuC+49], acc65 // copy acc to vreg[12]
v_accvgpr_read_b32 v[vgprValuC+52], acc81 // copy acc to vreg[13]
v_accvgpr_read_b32 v[vgprValuC+55], acc97 // copy acc to vreg[14]
v_accvgpr_read_b32 v[vgprValuC+58], acc113 // copy acc to vreg[15]
v_accvgpr_read_b32 v[vgprValuC+61], acc2 // copy acc to vreg[16]
v_accvgpr_read_b32 v[vgprValuC+64], acc18 // copy acc to vreg[17]
v_accvgpr_read_b32 v[vgprValuC+67], acc34 // copy acc to vreg[18]
v_accvgpr_read_b32 v[vgprValuC+70], acc50 // copy acc to vreg[19]
v_accvgpr_read_b32 v[vgprValuC+73], acc66 // copy acc to vreg[20]
v_accvgpr_read_b32 v[vgprValuC+76], acc82 // copy acc to vreg[21]
v_accvgpr_read_b32 v[vgprValuC+79], acc98 // copy acc to vreg[22]
v_accvgpr_read_b32 v[vgprValuC+82], acc114 // copy acc to vreg[23]
v_accvgpr_read_b32 v[vgprValuC+85], acc3 // copy acc to vreg[24]
v_accvgpr_read_b32 v[vgprValuC+88], acc19 // copy acc to vreg[25]
v_accvgpr_read_b32 v[vgprValuC+91], acc35 // copy acc to vreg[26]
v_accvgpr_read_b32 v[vgprValuC+94], acc51 // copy acc to vreg[27]
v_accvgpr_read_b32 v[vgprValuC+97], acc67 // copy acc to vreg[28]
v_accvgpr_read_b32 v[vgprValuC+100], acc83 // copy acc to vreg[29]
v_accvgpr_read_b32 v[vgprValuC+103], acc99 // copy acc to vreg[30]
v_accvgpr_read_b32 v[vgprValuC+106], acc115 // copy acc to vreg[31]
v_accvgpr_read_b32 v[vgprValuC+109], acc4 // copy acc to vreg[32]
v_accvgpr_read_b32 v[vgprValuC+112], acc20 // copy acc to vreg[33]
v_accvgpr_read_b32 v[vgprValuC+115], acc36 // copy acc to vreg[34]
v_accvgpr_read_b32 v[vgprValuC+121], acc52 // copy acc to vreg[35]
v_accvgpr_read_b32 v[vgprValuC+124], acc68 // copy acc to vreg[36]
v_accvgpr_read_b32 v[vgprValuC+127], acc84 // copy acc to vreg[37]
v_accvgpr_read_b32 v[vgprValuC+130], acc100 // copy acc to vreg[38]
v_accvgpr_read_b32 v[vgprValuC+133], acc116 // copy acc to vreg[39]
v_accvgpr_read_b32 v[vgprValuC+136], acc5 // copy acc to vreg[40]
v_accvgpr_read_b32 v[vgprValuC+139], acc21 // copy acc to vreg[41]
v_accvgpr_read_b32 v[vgprValuC+142], acc37 // copy acc to vreg[42]
v_accvgpr_read_b32 v[vgprValuC+145], acc53 // copy acc to vreg[43]
v_accvgpr_read_b32 v[vgprValuC+148], acc69 // copy acc to vreg[44]
v_accvgpr_read_b32 v[vgprValuC+151], acc85 // copy acc to vreg[45]
v_accvgpr_read_b32 v[vgprValuC+154], acc101 // copy acc to vreg[46]
v_accvgpr_read_b32 v[vgprValuC+157], acc117 // copy acc to vreg[47]
v_accvgpr_read_b32 v[vgprValuC+160], acc6 // copy acc to vreg[48]
v_accvgpr_read_b32 v[vgprValuC+163], acc22 // copy acc to vreg[49]
v_accvgpr_read_b32 v[vgprValuC+166], acc38 // copy acc to vreg[50]
v_accvgpr_read_b32 v[vgprValuC+169], acc54 // copy acc to vreg[51]
v_accvgpr_read_b32 v[vgprValuC+172], acc70 // copy acc to vreg[52]
v_accvgpr_read_b32 v[vgprValuC+175], acc86 // copy acc to vreg[53]
v_accvgpr_read_b32 v[vgprValuC+178], acc102 // copy acc to vreg[54]
v_accvgpr_read_b32 v[vgprValuC+181], acc118 // copy acc to vreg[55]
v_accvgpr_read_b32 v[vgprValuC+184], acc7 // copy acc to vreg[56]
v_accvgpr_read_b32 v[vgprValuC+187], acc23 // copy acc to vreg[57]
v_accvgpr_read_b32 v[vgprValuC+190], acc39 // copy acc to vreg[58]
v_accvgpr_read_b32 v[vgprValuC+193], acc55 // copy acc to vreg[59]
v_accvgpr_read_b32 v[vgprValuC+196], acc71 // copy acc to vreg[60]
v_accvgpr_read_b32 v[vgprValuC+199], acc87 // copy acc to vreg[61]
v_accvgpr_read_b32 v[vgprValuC+202], acc103 // copy acc to vreg[62]
v_accvgpr_read_b32 v[vgprValuC+205], acc119 // copy acc to vreg[63]
v_accvgpr_read_b32 v[vgprValuC+208], acc8 // copy acc to vreg[64]
v_accvgpr_read_b32 v[vgprValuC+211], acc24 // copy acc to vreg[65]
v_accvgpr_read_b32 v[vgprValuC+214], acc40 // copy acc to vreg[66]
v_accvgpr_read_b32 v[vgprValuC+217], acc56 // copy acc to vreg[67]
v_accvgpr_read_b32 v[vgprValuC+220], acc72 // copy acc to vreg[68]
v_accvgpr_read_b32 v[vgprValuC+223], acc88 // copy acc to vreg[69]
v_accvgpr_read_b32 v[vgprValuC+226], acc104 // copy acc to vreg[70]
v_accvgpr_read_b32 v[vgprValuC+229], acc120 // copy acc to vreg[71]
v_accvgpr_read_b32 v[vgprValuC+232], acc9 // copy acc to vreg[72]
v_accvgpr_read_b32 v[vgprValuC+235], acc25 // copy acc to vreg[73]
v_accvgpr_read_b32 v[vgprValuC+238], acc41 // copy acc to vreg[74]
v_accvgpr_read_b32 v[vgprValuC+241], acc57 // copy acc to vreg[75]
v_accvgpr_read_b32 v[vgprValuC+244], acc73 // copy acc to vreg[76]
v_accvgpr_read_b32 v[vgprValuC+247], acc89 // copy acc to vreg[77]
v_accvgpr_read_b32 v[vgprValuC+250], acc105 // copy acc to vreg[78]
v_accvgpr_read_b32 v[vgprValuC+253], acc121 // copy acc to vreg[79]
s_nop 1                                            // 2 wait states required before reading vgpr

/* rC *= alpha batchElements=[(0, 0, 0, 0), (0, 1, 0, 0), (0, 2, 0, 0), (0, 3, 0, 0), (0, 4, 0, 0), (0, 5, 0, 0), (0, 6, 0, 0), (0, 7, 0, 0), (0, 0, 1, 0), (0, 1, 1, 0), (0, 2, 1, 0), (0, 3, 1, 0), (0, 4, 1, 0), (0, 5, 1, 0), (0, 6, 1, 0), (0, 7, 1, 0), (0, 0, 2, 0), (0, 1, 2, 0), (0, 2, 2, 0), (0, 3, 2, 0), (0, 4, 2, 0), (0, 5, 2, 0), (0, 6, 2, 0), (0, 7, 2, 0), (0, 0, 3, 0), (0, 1, 3, 0), (0, 2, 3, 0), (0, 3, 3, 0), (0, 4, 3, 0), (0, 5, 3, 0), (0, 6, 3, 0), (0, 7, 3, 0), (1, 0, 0, 0), (1, 1, 0, 0), (1, 2, 0, 0), (1, 3, 0, 0), (1, 4, 0, 0), (1, 5, 0, 0), (1, 6, 0, 0), (1, 7, 0, 0), (1, 0, 1, 0), (1, 1, 1, 0), (1, 2, 1, 0), (1, 3, 1, 0), (1, 4, 1, 0), (1, 5, 1, 0), (1, 6, 1, 0), (1, 7, 1, 0), (1, 0, 2, 0), (1, 1, 2, 0), (1, 2, 2, 0), (1, 3, 2, 0), (1, 4, 2, 0), (1, 5, 2, 0), (1, 6, 2, 0), (1, 7, 2, 0), (1, 0, 3, 0), (1, 1, 3, 0), (1, 2, 3, 0), (1, 3, 3, 0), (1, 4, 3, 0), (1, 5, 3, 0), (1, 6, 3, 0), (1, 7, 3, 0), (2, 0, 0, 0), (2, 1, 0, 0), (2, 2, 0, 0), (2, 3, 0, 0), (2, 4, 0, 0), (2, 5, 0, 0), (2, 6, 0, 0), (2, 7, 0, 0), (2, 0, 1, 0), (2, 1, 1, 0), (2, 2, 1, 0), (2, 3, 1, 0), (2, 4, 1, 0), (2, 5, 1, 0), (2, 6, 1, 0), (2, 7, 1, 0)] */
v_mul_f32 v[vgprValuC+13], s[sgprAlpha], v[vgprValuC+13] // *= alpha
v_mul_f32 v[vgprValuC+16], s[sgprAlpha], v[vgprValuC+16] // *= alpha
	;; [unrolled: 1-line block ×80, first 2 shown]
s_waitcnt vmcnt(0)                                 // wait C

/* apply mask, calc new C and issue writes */
v_mov_b32 v10, 0x207                               // flag for Nan and +/- inf
v_mov_b32 v8, 0x47600000                           // save 57344.0f as max for clipping
v_mov_b32 v9, 0xC7600000                           // save -57344`.0f as min for clipping
v_cvt_f32_bf8 v6, v12 src0_sel:BYTE_0   // convert bf8 in lo_byte[0] to f32
_v_mac_f32 v[vgprValuC+13], v6, s[sgprBeta]        // finalSum = sum*alpha + C*beta
v_cmp_class_f32 s[52:53], v[vgprValuC+13], v10     // check NaN and +/-INF
v_med3_f32 v6, v[vgprValuC+13], v8, v9             // Clipping f32 value if exceeds the limit
v_cndmask_b32 v6, v6, v[vgprValuC+13], s[52:53]    // 
v_cvt_pk_bf8_f32  v13, v6, v6                      // convert f32 accumulated values to fp8
buffer_store_byte v13, v11, s[sgprSrdD:sgprSrdD+3], 0, offen, offset:0,  sc0 sc1 // store D
v_cvt_f32_bf8 v6, v15 src0_sel:BYTE_0   // convert bf8 in lo_byte[0] to f32
_v_mac_f32 v[vgprValuC+16], v6, s[sgprBeta]        // finalSum = sum*alpha + C*beta
v_cmp_class_f32 s[52:53], v[vgprValuC+16], v10     // check NaN and +/-INF
v_med3_f32 v6, v[vgprValuC+16], v8, v9             // Clipping f32 value if exceeds the limit
v_cndmask_b32 v6, v6, v[vgprValuC+16], s[52:53]    // 
v_cvt_pk_bf8_f32  v16, v6, v6                      // convert f32 accumulated values to fp8
buffer_store_byte v16, v14, s[sgprSrdD:sgprSrdD+3], 0, offen, offset:0,  sc0 sc1 // store D
	;; [unrolled: 7-line block ×29, first 2 shown]
v_cvt_f32_bf8 v6, v99 src0_sel:BYTE_0   // convert bf8 in lo_byte[0] to f32
_v_mac_f32 v[vgprValuC+100], v6, s[sgprBeta]       // finalSum = sum*alpha + C*beta
v_cmp_class_f32 s[52:53], v[vgprValuC+100], v10    // check NaN and +/-INF
v_med3_f32 v6, v[vgprValuC+100], v8, v9            // Clipping f32 value if exceeds the limit
v_cndmask_b32 v6, v6, v[vgprValuC+100], s[52:53]   // 
v_cvt_pk_bf8_f32  v100, v6, v6                     // convert f32 accumulated values to fp8
buffer_store_byte v100, v98, s[sgprSrdD:sgprSrdD+3], 0, offen, offset:0,  sc0 sc1 // store D
v_cvt_f32_bf8 v6, v102 src0_sel:BYTE_0   // convert bf8 in lo_byte[0] to f32
_v_mac_f32 v[vgprValuC+103], v6, s[sgprBeta]       // finalSum = sum*alpha + C*beta
v_cmp_class_f32 s[52:53], v[vgprValuC+103], v10    // check NaN and +/-INF
v_med3_f32 v6, v[vgprValuC+103], v8, v9            // Clipping f32 value if exceeds the limit
v_cndmask_b32 v6, v6, v[vgprValuC+103], s[52:53]   // 
v_cvt_pk_bf8_f32  v103, v6, v6                     // convert f32 accumulated values to fp8
buffer_store_byte v103, v101, s[sgprSrdD:sgprSrdD+3], 0, offen, offset:0,  sc0 sc1 // store D
v_cvt_f32_bf8 v6, v105 src0_sel:BYTE_0   // convert bf8 in lo_byte[0] to f32
_v_mac_f32 v[vgprValuC+106], v6, s[sgprBeta]       // finalSum = sum*alpha + C*beta
v_cmp_class_f32 s[52:53], v[vgprValuC+106], v10    // check NaN and +/-INF
v_med3_f32 v6, v[vgprValuC+106], v8, v9            // Clipping f32 value if exceeds the limit
v_cndmask_b32 v6, v6, v[vgprValuC+106], s[52:53]   // 
v_cvt_pk_bf8_f32  v106, v6, v6                     // convert f32 accumulated values to fp8
buffer_store_byte v106, v104, s[sgprSrdD:sgprSrdD+3], 0, offen, offset:0,  sc0 sc1 // store D
v_cvt_f32_bf8 v6, v108 src0_sel:BYTE_0   // convert bf8 in lo_byte[0] to f32
_v_mac_f32 v[vgprValuC+109], v6, s[sgprBeta]       // finalSum = sum*alpha + C*beta
v_cmp_class_f32 s[52:53], v[vgprValuC+109], v10    // check NaN and +/-INF
v_med3_f32 v6, v[vgprValuC+109], v8, v9            // Clipping f32 value if exceeds the limit
v_cndmask_b32 v6, v6, v[vgprValuC+109], s[52:53]   // 
v_cvt_pk_bf8_f32  v109, v6, v6                     // convert f32 accumulated values to fp8
buffer_store_byte v109, v107, s[sgprSrdD:sgprSrdD+3], 0, offen, offset:0,  sc0 sc1 // store D
v_cvt_f32_bf8 v6, v111 src0_sel:BYTE_0   // convert bf8 in lo_byte[0] to f32
_v_mac_f32 v[vgprValuC+112], v6, s[sgprBeta]       // finalSum = sum*alpha + C*beta
v_cmp_class_f32 s[52:53], v[vgprValuC+112], v10    // check NaN and +/-INF
v_med3_f32 v6, v[vgprValuC+112], v8, v9            // Clipping f32 value if exceeds the limit
v_cndmask_b32 v6, v6, v[vgprValuC+112], s[52:53]   // 
v_cvt_pk_bf8_f32  v112, v6, v6                     // convert f32 accumulated values to fp8
buffer_store_byte v112, v110, s[sgprSrdD:sgprSrdD+3], 0, offen, offset:0,  sc0 sc1 // store D
v_cvt_f32_bf8 v6, v114 src0_sel:BYTE_0   // convert bf8 in lo_byte[0] to f32
_v_mac_f32 v[vgprValuC+115], v6, s[sgprBeta]       // finalSum = sum*alpha + C*beta
v_cmp_class_f32 s[52:53], v[vgprValuC+115], v10    // check NaN and +/-INF
v_med3_f32 v6, v[vgprValuC+115], v8, v9            // Clipping f32 value if exceeds the limit
v_cndmask_b32 v6, v6, v[vgprValuC+115], s[52:53]   // 
v_cvt_pk_bf8_f32  v115, v6, v6                     // convert f32 accumulated values to fp8
buffer_store_byte v115, v113, s[sgprSrdD:sgprSrdD+3], 0, offen, offset:0,  sc0 sc1 // store D
v_cvt_f32_bf8 v6, v120 src0_sel:BYTE_0   // convert bf8 in lo_byte[0] to f32
_v_mac_f32 v[vgprValuC+121], v6, s[sgprBeta]       // finalSum = sum*alpha + C*beta
v_cmp_class_f32 s[52:53], v[vgprValuC+121], v10    // check NaN and +/-INF
v_med3_f32 v6, v[vgprValuC+121], v8, v9            // Clipping f32 value if exceeds the limit
v_cndmask_b32 v6, v6, v[vgprValuC+121], s[52:53]   // 
v_cvt_pk_bf8_f32  v121, v6, v6                     // convert f32 accumulated values to fp8
buffer_store_byte v121, v119, s[sgprSrdD:sgprSrdD+3], 0, offen, offset:0,  sc0 sc1 // store D
v_cvt_f32_bf8 v6, v123 src0_sel:BYTE_0   // convert bf8 in lo_byte[0] to f32
_v_mac_f32 v[vgprValuC+124], v6, s[sgprBeta]       // finalSum = sum*alpha + C*beta
v_cmp_class_f32 s[52:53], v[vgprValuC+124], v10    // check NaN and +/-INF
v_med3_f32 v6, v[vgprValuC+124], v8, v9            // Clipping f32 value if exceeds the limit
v_cndmask_b32 v6, v6, v[vgprValuC+124], s[52:53]   // 
v_cvt_pk_bf8_f32  v124, v6, v6                     // convert f32 accumulated values to fp8
buffer_store_byte v124, v122, s[sgprSrdD:sgprSrdD+3], 0, offen, offset:0,  sc0 sc1 // store D
v_cvt_f32_bf8 v6, v126 src0_sel:BYTE_0   // convert bf8 in lo_byte[0] to f32
_v_mac_f32 v[vgprValuC+127], v6, s[sgprBeta]       // finalSum = sum*alpha + C*beta
v_cmp_class_f32 s[52:53], v[vgprValuC+127], v10    // check NaN and +/-INF
v_med3_f32 v6, v[vgprValuC+127], v8, v9            // Clipping f32 value if exceeds the limit
v_cndmask_b32 v6, v6, v[vgprValuC+127], s[52:53]   // 
v_cvt_pk_bf8_f32  v127, v6, v6                     // convert f32 accumulated values to fp8
buffer_store_byte v127, v125, s[sgprSrdD:sgprSrdD+3], 0, offen, offset:0,  sc0 sc1 // store D
v_cvt_f32_bf8 v6, v129 src0_sel:BYTE_0   // convert bf8 in lo_byte[0] to f32
_v_mac_f32 v[vgprValuC+130], v6, s[sgprBeta]       // finalSum = sum*alpha + C*beta
v_cmp_class_f32 s[52:53], v[vgprValuC+130], v10    // check NaN and +/-INF
v_med3_f32 v6, v[vgprValuC+130], v8, v9            // Clipping f32 value if exceeds the limit
v_cndmask_b32 v6, v6, v[vgprValuC+130], s[52:53]   // 
v_cvt_pk_bf8_f32  v130, v6, v6                     // convert f32 accumulated values to fp8
buffer_store_byte v130, v128, s[sgprSrdD:sgprSrdD+3], 0, offen, offset:0,  sc0 sc1 // store D
v_cvt_f32_bf8 v6, v132 src0_sel:BYTE_0   // convert bf8 in lo_byte[0] to f32
_v_mac_f32 v[vgprValuC+133], v6, s[sgprBeta]       // finalSum = sum*alpha + C*beta
v_cmp_class_f32 s[52:53], v[vgprValuC+133], v10    // check NaN and +/-INF
v_med3_f32 v6, v[vgprValuC+133], v8, v9            // Clipping f32 value if exceeds the limit
v_cndmask_b32 v6, v6, v[vgprValuC+133], s[52:53]   // 
v_cvt_pk_bf8_f32  v133, v6, v6                     // convert f32 accumulated values to fp8
buffer_store_byte v133, v131, s[sgprSrdD:sgprSrdD+3], 0, offen, offset:0,  sc0 sc1 // store D
v_cvt_f32_bf8 v6, v135 src0_sel:BYTE_0   // convert bf8 in lo_byte[0] to f32
_v_mac_f32 v[vgprValuC+136], v6, s[sgprBeta]       // finalSum = sum*alpha + C*beta
v_cmp_class_f32 s[52:53], v[vgprValuC+136], v10    // check NaN and +/-INF
v_med3_f32 v6, v[vgprValuC+136], v8, v9            // Clipping f32 value if exceeds the limit
v_cndmask_b32 v6, v6, v[vgprValuC+136], s[52:53]   // 
v_cvt_pk_bf8_f32  v136, v6, v6                     // convert f32 accumulated values to fp8
buffer_store_byte v136, v134, s[sgprSrdD:sgprSrdD+3], 0, offen, offset:0,  sc0 sc1 // store D
v_cvt_f32_bf8 v6, v138 src0_sel:BYTE_0   // convert bf8 in lo_byte[0] to f32
_v_mac_f32 v[vgprValuC+139], v6, s[sgprBeta]       // finalSum = sum*alpha + C*beta
v_cmp_class_f32 s[52:53], v[vgprValuC+139], v10    // check NaN and +/-INF
v_med3_f32 v6, v[vgprValuC+139], v8, v9            // Clipping f32 value if exceeds the limit
v_cndmask_b32 v6, v6, v[vgprValuC+139], s[52:53]   // 
v_cvt_pk_bf8_f32  v139, v6, v6                     // convert f32 accumulated values to fp8
buffer_store_byte v139, v137, s[sgprSrdD:sgprSrdD+3], 0, offen, offset:0,  sc0 sc1 // store D
v_cvt_f32_bf8 v6, v141 src0_sel:BYTE_0   // convert bf8 in lo_byte[0] to f32
_v_mac_f32 v[vgprValuC+142], v6, s[sgprBeta]       // finalSum = sum*alpha + C*beta
v_cmp_class_f32 s[52:53], v[vgprValuC+142], v10    // check NaN and +/-INF
v_med3_f32 v6, v[vgprValuC+142], v8, v9            // Clipping f32 value if exceeds the limit
v_cndmask_b32 v6, v6, v[vgprValuC+142], s[52:53]   // 
v_cvt_pk_bf8_f32  v142, v6, v6                     // convert f32 accumulated values to fp8
buffer_store_byte v142, v140, s[sgprSrdD:sgprSrdD+3], 0, offen, offset:0,  sc0 sc1 // store D
v_cvt_f32_bf8 v6, v144 src0_sel:BYTE_0   // convert bf8 in lo_byte[0] to f32
_v_mac_f32 v[vgprValuC+145], v6, s[sgprBeta]       // finalSum = sum*alpha + C*beta
v_cmp_class_f32 s[52:53], v[vgprValuC+145], v10    // check NaN and +/-INF
v_med3_f32 v6, v[vgprValuC+145], v8, v9            // Clipping f32 value if exceeds the limit
v_cndmask_b32 v6, v6, v[vgprValuC+145], s[52:53]   // 
v_cvt_pk_bf8_f32  v145, v6, v6                     // convert f32 accumulated values to fp8
buffer_store_byte v145, v143, s[sgprSrdD:sgprSrdD+3], 0, offen, offset:0,  sc0 sc1 // store D
v_cvt_f32_bf8 v6, v147 src0_sel:BYTE_0   // convert bf8 in lo_byte[0] to f32
_v_mac_f32 v[vgprValuC+148], v6, s[sgprBeta]       // finalSum = sum*alpha + C*beta
v_cmp_class_f32 s[52:53], v[vgprValuC+148], v10    // check NaN and +/-INF
v_med3_f32 v6, v[vgprValuC+148], v8, v9            // Clipping f32 value if exceeds the limit
v_cndmask_b32 v6, v6, v[vgprValuC+148], s[52:53]   // 
v_cvt_pk_bf8_f32  v148, v6, v6                     // convert f32 accumulated values to fp8
buffer_store_byte v148, v146, s[sgprSrdD:sgprSrdD+3], 0, offen, offset:0,  sc0 sc1 // store D
v_cvt_f32_bf8 v6, v150 src0_sel:BYTE_0   // convert bf8 in lo_byte[0] to f32
_v_mac_f32 v[vgprValuC+151], v6, s[sgprBeta]       // finalSum = sum*alpha + C*beta
v_cmp_class_f32 s[52:53], v[vgprValuC+151], v10    // check NaN and +/-INF
v_med3_f32 v6, v[vgprValuC+151], v8, v9            // Clipping f32 value if exceeds the limit
v_cndmask_b32 v6, v6, v[vgprValuC+151], s[52:53]   // 
v_cvt_pk_bf8_f32  v151, v6, v6                     // convert f32 accumulated values to fp8
buffer_store_byte v151, v149, s[sgprSrdD:sgprSrdD+3], 0, offen, offset:0,  sc0 sc1 // store D
v_cvt_f32_bf8 v6, v153 src0_sel:BYTE_0   // convert bf8 in lo_byte[0] to f32
_v_mac_f32 v[vgprValuC+154], v6, s[sgprBeta]       // finalSum = sum*alpha + C*beta
v_cmp_class_f32 s[52:53], v[vgprValuC+154], v10    // check NaN and +/-INF
v_med3_f32 v6, v[vgprValuC+154], v8, v9            // Clipping f32 value if exceeds the limit
v_cndmask_b32 v6, v6, v[vgprValuC+154], s[52:53]   // 
v_cvt_pk_bf8_f32  v154, v6, v6                     // convert f32 accumulated values to fp8
buffer_store_byte v154, v152, s[sgprSrdD:sgprSrdD+3], 0, offen, offset:0,  sc0 sc1 // store D
v_cvt_f32_bf8 v6, v156 src0_sel:BYTE_0   // convert bf8 in lo_byte[0] to f32
_v_mac_f32 v[vgprValuC+157], v6, s[sgprBeta]       // finalSum = sum*alpha + C*beta
v_cmp_class_f32 s[52:53], v[vgprValuC+157], v10    // check NaN and +/-INF
v_med3_f32 v6, v[vgprValuC+157], v8, v9            // Clipping f32 value if exceeds the limit
v_cndmask_b32 v6, v6, v[vgprValuC+157], s[52:53]   // 
v_cvt_pk_bf8_f32  v157, v6, v6                     // convert f32 accumulated values to fp8
buffer_store_byte v157, v155, s[sgprSrdD:sgprSrdD+3], 0, offen, offset:0,  sc0 sc1 // store D
v_cvt_f32_bf8 v6, v159 src0_sel:BYTE_0   // convert bf8 in lo_byte[0] to f32
_v_mac_f32 v[vgprValuC+160], v6, s[sgprBeta]       // finalSum = sum*alpha + C*beta
v_cmp_class_f32 s[52:53], v[vgprValuC+160], v10    // check NaN and +/-INF
v_med3_f32 v6, v[vgprValuC+160], v8, v9            // Clipping f32 value if exceeds the limit
v_cndmask_b32 v6, v6, v[vgprValuC+160], s[52:53]   // 
v_cvt_pk_bf8_f32  v160, v6, v6                     // convert f32 accumulated values to fp8
buffer_store_byte v160, v158, s[sgprSrdD:sgprSrdD+3], 0, offen, offset:0,  sc0 sc1 // store D
v_cvt_f32_bf8 v6, v162 src0_sel:BYTE_0   // convert bf8 in lo_byte[0] to f32
_v_mac_f32 v[vgprValuC+163], v6, s[sgprBeta]       // finalSum = sum*alpha + C*beta
v_cmp_class_f32 s[52:53], v[vgprValuC+163], v10    // check NaN and +/-INF
v_med3_f32 v6, v[vgprValuC+163], v8, v9            // Clipping f32 value if exceeds the limit
v_cndmask_b32 v6, v6, v[vgprValuC+163], s[52:53]   // 
v_cvt_pk_bf8_f32  v163, v6, v6                     // convert f32 accumulated values to fp8
buffer_store_byte v163, v161, s[sgprSrdD:sgprSrdD+3], 0, offen, offset:0,  sc0 sc1 // store D
v_cvt_f32_bf8 v6, v165 src0_sel:BYTE_0   // convert bf8 in lo_byte[0] to f32
_v_mac_f32 v[vgprValuC+166], v6, s[sgprBeta]       // finalSum = sum*alpha + C*beta
v_cmp_class_f32 s[52:53], v[vgprValuC+166], v10    // check NaN and +/-INF
v_med3_f32 v6, v[vgprValuC+166], v8, v9            // Clipping f32 value if exceeds the limit
v_cndmask_b32 v6, v6, v[vgprValuC+166], s[52:53]   // 
v_cvt_pk_bf8_f32  v166, v6, v6                     // convert f32 accumulated values to fp8
buffer_store_byte v166, v164, s[sgprSrdD:sgprSrdD+3], 0, offen, offset:0,  sc0 sc1 // store D
v_cvt_f32_bf8 v6, v168 src0_sel:BYTE_0   // convert bf8 in lo_byte[0] to f32
_v_mac_f32 v[vgprValuC+169], v6, s[sgprBeta]       // finalSum = sum*alpha + C*beta
v_cmp_class_f32 s[52:53], v[vgprValuC+169], v10    // check NaN and +/-INF
v_med3_f32 v6, v[vgprValuC+169], v8, v9            // Clipping f32 value if exceeds the limit
v_cndmask_b32 v6, v6, v[vgprValuC+169], s[52:53]   // 
v_cvt_pk_bf8_f32  v169, v6, v6                     // convert f32 accumulated values to fp8
buffer_store_byte v169, v167, s[sgprSrdD:sgprSrdD+3], 0, offen, offset:0,  sc0 sc1 // store D
v_cvt_f32_bf8 v6, v171 src0_sel:BYTE_0   // convert bf8 in lo_byte[0] to f32
_v_mac_f32 v[vgprValuC+172], v6, s[sgprBeta]       // finalSum = sum*alpha + C*beta
v_cmp_class_f32 s[52:53], v[vgprValuC+172], v10    // check NaN and +/-INF
v_med3_f32 v6, v[vgprValuC+172], v8, v9            // Clipping f32 value if exceeds the limit
v_cndmask_b32 v6, v6, v[vgprValuC+172], s[52:53]   // 
v_cvt_pk_bf8_f32  v172, v6, v6                     // convert f32 accumulated values to fp8
buffer_store_byte v172, v170, s[sgprSrdD:sgprSrdD+3], 0, offen, offset:0,  sc0 sc1 // store D
v_cvt_f32_bf8 v6, v174 src0_sel:BYTE_0   // convert bf8 in lo_byte[0] to f32
_v_mac_f32 v[vgprValuC+175], v6, s[sgprBeta]       // finalSum = sum*alpha + C*beta
v_cmp_class_f32 s[52:53], v[vgprValuC+175], v10    // check NaN and +/-INF
v_med3_f32 v6, v[vgprValuC+175], v8, v9            // Clipping f32 value if exceeds the limit
v_cndmask_b32 v6, v6, v[vgprValuC+175], s[52:53]   // 
v_cvt_pk_bf8_f32  v175, v6, v6                     // convert f32 accumulated values to fp8
buffer_store_byte v175, v173, s[sgprSrdD:sgprSrdD+3], 0, offen, offset:0,  sc0 sc1 // store D
v_cvt_f32_bf8 v6, v177 src0_sel:BYTE_0   // convert bf8 in lo_byte[0] to f32
_v_mac_f32 v[vgprValuC+178], v6, s[sgprBeta]       // finalSum = sum*alpha + C*beta
v_cmp_class_f32 s[52:53], v[vgprValuC+178], v10    // check NaN and +/-INF
v_med3_f32 v6, v[vgprValuC+178], v8, v9            // Clipping f32 value if exceeds the limit
v_cndmask_b32 v6, v6, v[vgprValuC+178], s[52:53]   // 
v_cvt_pk_bf8_f32  v178, v6, v6                     // convert f32 accumulated values to fp8
buffer_store_byte v178, v176, s[sgprSrdD:sgprSrdD+3], 0, offen, offset:0,  sc0 sc1 // store D
v_cvt_f32_bf8 v6, v180 src0_sel:BYTE_0   // convert bf8 in lo_byte[0] to f32
_v_mac_f32 v[vgprValuC+181], v6, s[sgprBeta]       // finalSum = sum*alpha + C*beta
v_cmp_class_f32 s[52:53], v[vgprValuC+181], v10    // check NaN and +/-INF
v_med3_f32 v6, v[vgprValuC+181], v8, v9            // Clipping f32 value if exceeds the limit
v_cndmask_b32 v6, v6, v[vgprValuC+181], s[52:53]   // 
v_cvt_pk_bf8_f32  v181, v6, v6                     // convert f32 accumulated values to fp8
buffer_store_byte v181, v179, s[sgprSrdD:sgprSrdD+3], 0, offen, offset:0,  sc0 sc1 // store D
v_cvt_f32_bf8 v6, v183 src0_sel:BYTE_0   // convert bf8 in lo_byte[0] to f32
_v_mac_f32 v[vgprValuC+184], v6, s[sgprBeta]       // finalSum = sum*alpha + C*beta
v_cmp_class_f32 s[52:53], v[vgprValuC+184], v10    // check NaN and +/-INF
v_med3_f32 v6, v[vgprValuC+184], v8, v9            // Clipping f32 value if exceeds the limit
v_cndmask_b32 v6, v6, v[vgprValuC+184], s[52:53]   // 
v_cvt_pk_bf8_f32  v184, v6, v6                     // convert f32 accumulated values to fp8
buffer_store_byte v184, v182, s[sgprSrdD:sgprSrdD+3], 0, offen, offset:0,  sc0 sc1 // store D
v_cvt_f32_bf8 v6, v186 src0_sel:BYTE_0   // convert bf8 in lo_byte[0] to f32
_v_mac_f32 v[vgprValuC+187], v6, s[sgprBeta]       // finalSum = sum*alpha + C*beta
v_cmp_class_f32 s[52:53], v[vgprValuC+187], v10    // check NaN and +/-INF
v_med3_f32 v6, v[vgprValuC+187], v8, v9            // Clipping f32 value if exceeds the limit
v_cndmask_b32 v6, v6, v[vgprValuC+187], s[52:53]   // 
v_cvt_pk_bf8_f32  v187, v6, v6                     // convert f32 accumulated values to fp8
buffer_store_byte v187, v185, s[sgprSrdD:sgprSrdD+3], 0, offen, offset:0,  sc0 sc1 // store D
v_cvt_f32_bf8 v6, v189 src0_sel:BYTE_0   // convert bf8 in lo_byte[0] to f32
_v_mac_f32 v[vgprValuC+190], v6, s[sgprBeta]       // finalSum = sum*alpha + C*beta
v_cmp_class_f32 s[52:53], v[vgprValuC+190], v10    // check NaN and +/-INF
v_med3_f32 v6, v[vgprValuC+190], v8, v9            // Clipping f32 value if exceeds the limit
v_cndmask_b32 v6, v6, v[vgprValuC+190], s[52:53]   // 
v_cvt_pk_bf8_f32  v190, v6, v6                     // convert f32 accumulated values to fp8
buffer_store_byte v190, v188, s[sgprSrdD:sgprSrdD+3], 0, offen, offset:0,  sc0 sc1 // store D
v_cvt_f32_bf8 v6, v192 src0_sel:BYTE_0   // convert bf8 in lo_byte[0] to f32
_v_mac_f32 v[vgprValuC+193], v6, s[sgprBeta]       // finalSum = sum*alpha + C*beta
v_cmp_class_f32 s[52:53], v[vgprValuC+193], v10    // check NaN and +/-INF
v_med3_f32 v6, v[vgprValuC+193], v8, v9            // Clipping f32 value if exceeds the limit
v_cndmask_b32 v6, v6, v[vgprValuC+193], s[52:53]   // 
v_cvt_pk_bf8_f32  v193, v6, v6                     // convert f32 accumulated values to fp8
buffer_store_byte v193, v191, s[sgprSrdD:sgprSrdD+3], 0, offen, offset:0,  sc0 sc1 // store D
v_cvt_f32_bf8 v6, v195 src0_sel:BYTE_0   // convert bf8 in lo_byte[0] to f32
_v_mac_f32 v[vgprValuC+196], v6, s[sgprBeta]       // finalSum = sum*alpha + C*beta
v_cmp_class_f32 s[52:53], v[vgprValuC+196], v10    // check NaN and +/-INF
v_med3_f32 v6, v[vgprValuC+196], v8, v9            // Clipping f32 value if exceeds the limit
v_cndmask_b32 v6, v6, v[vgprValuC+196], s[52:53]   // 
v_cvt_pk_bf8_f32  v196, v6, v6                     // convert f32 accumulated values to fp8
buffer_store_byte v196, v194, s[sgprSrdD:sgprSrdD+3], 0, offen, offset:0,  sc0 sc1 // store D
v_cvt_f32_bf8 v6, v198 src0_sel:BYTE_0   // convert bf8 in lo_byte[0] to f32
_v_mac_f32 v[vgprValuC+199], v6, s[sgprBeta]       // finalSum = sum*alpha + C*beta
v_cmp_class_f32 s[52:53], v[vgprValuC+199], v10    // check NaN and +/-INF
v_med3_f32 v6, v[vgprValuC+199], v8, v9            // Clipping f32 value if exceeds the limit
v_cndmask_b32 v6, v6, v[vgprValuC+199], s[52:53]   // 
v_cvt_pk_bf8_f32  v199, v6, v6                     // convert f32 accumulated values to fp8
buffer_store_byte v199, v197, s[sgprSrdD:sgprSrdD+3], 0, offen, offset:0,  sc0 sc1 // store D
v_cvt_f32_bf8 v6, v201 src0_sel:BYTE_0   // convert bf8 in lo_byte[0] to f32
_v_mac_f32 v[vgprValuC+202], v6, s[sgprBeta]       // finalSum = sum*alpha + C*beta
v_cmp_class_f32 s[52:53], v[vgprValuC+202], v10    // check NaN and +/-INF
v_med3_f32 v6, v[vgprValuC+202], v8, v9            // Clipping f32 value if exceeds the limit
v_cndmask_b32 v6, v6, v[vgprValuC+202], s[52:53]   // 
v_cvt_pk_bf8_f32  v202, v6, v6                     // convert f32 accumulated values to fp8
buffer_store_byte v202, v200, s[sgprSrdD:sgprSrdD+3], 0, offen, offset:0,  sc0 sc1 // store D
v_cvt_f32_bf8 v6, v204 src0_sel:BYTE_0   // convert bf8 in lo_byte[0] to f32
_v_mac_f32 v[vgprValuC+205], v6, s[sgprBeta]       // finalSum = sum*alpha + C*beta
v_cmp_class_f32 s[52:53], v[vgprValuC+205], v10    // check NaN and +/-INF
v_med3_f32 v6, v[vgprValuC+205], v8, v9            // Clipping f32 value if exceeds the limit
v_cndmask_b32 v6, v6, v[vgprValuC+205], s[52:53]   // 
v_cvt_pk_bf8_f32  v205, v6, v6                     // convert f32 accumulated values to fp8
buffer_store_byte v205, v203, s[sgprSrdD:sgprSrdD+3], 0, offen, offset:0,  sc0 sc1 // store D
v_cvt_f32_bf8 v6, v207 src0_sel:BYTE_0   // convert bf8 in lo_byte[0] to f32
_v_mac_f32 v[vgprValuC+208], v6, s[sgprBeta]       // finalSum = sum*alpha + C*beta
v_cmp_class_f32 s[52:53], v[vgprValuC+208], v10    // check NaN and +/-INF
v_med3_f32 v6, v[vgprValuC+208], v8, v9            // Clipping f32 value if exceeds the limit
v_cndmask_b32 v6, v6, v[vgprValuC+208], s[52:53]   // 
v_cvt_pk_bf8_f32  v208, v6, v6                     // convert f32 accumulated values to fp8
buffer_store_byte v208, v206, s[sgprSrdD:sgprSrdD+3], 0, offen, offset:0,  sc0 sc1 // store D
v_cvt_f32_bf8 v6, v210 src0_sel:BYTE_0   // convert bf8 in lo_byte[0] to f32
_v_mac_f32 v[vgprValuC+211], v6, s[sgprBeta]       // finalSum = sum*alpha + C*beta
v_cmp_class_f32 s[52:53], v[vgprValuC+211], v10    // check NaN and +/-INF
v_med3_f32 v6, v[vgprValuC+211], v8, v9            // Clipping f32 value if exceeds the limit
v_cndmask_b32 v6, v6, v[vgprValuC+211], s[52:53]   // 
v_cvt_pk_bf8_f32  v211, v6, v6                     // convert f32 accumulated values to fp8
buffer_store_byte v211, v209, s[sgprSrdD:sgprSrdD+3], 0, offen, offset:0,  sc0 sc1 // store D
v_cvt_f32_bf8 v6, v213 src0_sel:BYTE_0   // convert bf8 in lo_byte[0] to f32
_v_mac_f32 v[vgprValuC+214], v6, s[sgprBeta]       // finalSum = sum*alpha + C*beta
v_cmp_class_f32 s[52:53], v[vgprValuC+214], v10    // check NaN and +/-INF
v_med3_f32 v6, v[vgprValuC+214], v8, v9            // Clipping f32 value if exceeds the limit
v_cndmask_b32 v6, v6, v[vgprValuC+214], s[52:53]   // 
v_cvt_pk_bf8_f32  v214, v6, v6                     // convert f32 accumulated values to fp8
buffer_store_byte v214, v212, s[sgprSrdD:sgprSrdD+3], 0, offen, offset:0,  sc0 sc1 // store D
v_cvt_f32_bf8 v6, v216 src0_sel:BYTE_0   // convert bf8 in lo_byte[0] to f32
_v_mac_f32 v[vgprValuC+217], v6, s[sgprBeta]       // finalSum = sum*alpha + C*beta
v_cmp_class_f32 s[52:53], v[vgprValuC+217], v10    // check NaN and +/-INF
v_med3_f32 v6, v[vgprValuC+217], v8, v9            // Clipping f32 value if exceeds the limit
v_cndmask_b32 v6, v6, v[vgprValuC+217], s[52:53]   // 
v_cvt_pk_bf8_f32  v217, v6, v6                     // convert f32 accumulated values to fp8
buffer_store_byte v217, v215, s[sgprSrdD:sgprSrdD+3], 0, offen, offset:0,  sc0 sc1 // store D
v_cvt_f32_bf8 v6, v219 src0_sel:BYTE_0   // convert bf8 in lo_byte[0] to f32
_v_mac_f32 v[vgprValuC+220], v6, s[sgprBeta]       // finalSum = sum*alpha + C*beta
v_cmp_class_f32 s[52:53], v[vgprValuC+220], v10    // check NaN and +/-INF
v_med3_f32 v6, v[vgprValuC+220], v8, v9            // Clipping f32 value if exceeds the limit
v_cndmask_b32 v6, v6, v[vgprValuC+220], s[52:53]   // 
v_cvt_pk_bf8_f32  v220, v6, v6                     // convert f32 accumulated values to fp8
buffer_store_byte v220, v218, s[sgprSrdD:sgprSrdD+3], 0, offen, offset:0,  sc0 sc1 // store D
v_cvt_f32_bf8 v6, v222 src0_sel:BYTE_0   // convert bf8 in lo_byte[0] to f32
_v_mac_f32 v[vgprValuC+223], v6, s[sgprBeta]       // finalSum = sum*alpha + C*beta
v_cmp_class_f32 s[52:53], v[vgprValuC+223], v10    // check NaN and +/-INF
v_med3_f32 v6, v[vgprValuC+223], v8, v9            // Clipping f32 value if exceeds the limit
v_cndmask_b32 v6, v6, v[vgprValuC+223], s[52:53]   // 
v_cvt_pk_bf8_f32  v223, v6, v6                     // convert f32 accumulated values to fp8
buffer_store_byte v223, v221, s[sgprSrdD:sgprSrdD+3], 0, offen, offset:0,  sc0 sc1 // store D
v_cvt_f32_bf8 v6, v225 src0_sel:BYTE_0   // convert bf8 in lo_byte[0] to f32
_v_mac_f32 v[vgprValuC+226], v6, s[sgprBeta]       // finalSum = sum*alpha + C*beta
v_cmp_class_f32 s[52:53], v[vgprValuC+226], v10    // check NaN and +/-INF
v_med3_f32 v6, v[vgprValuC+226], v8, v9            // Clipping f32 value if exceeds the limit
v_cndmask_b32 v6, v6, v[vgprValuC+226], s[52:53]   // 
v_cvt_pk_bf8_f32  v226, v6, v6                     // convert f32 accumulated values to fp8
buffer_store_byte v226, v224, s[sgprSrdD:sgprSrdD+3], 0, offen, offset:0,  sc0 sc1 // store D
v_cvt_f32_bf8 v6, v228 src0_sel:BYTE_0   // convert bf8 in lo_byte[0] to f32
_v_mac_f32 v[vgprValuC+229], v6, s[sgprBeta]       // finalSum = sum*alpha + C*beta
v_cmp_class_f32 s[52:53], v[vgprValuC+229], v10    // check NaN and +/-INF
v_med3_f32 v6, v[vgprValuC+229], v8, v9            // Clipping f32 value if exceeds the limit
v_cndmask_b32 v6, v6, v[vgprValuC+229], s[52:53]   // 
v_cvt_pk_bf8_f32  v229, v6, v6                     // convert f32 accumulated values to fp8
buffer_store_byte v229, v227, s[sgprSrdD:sgprSrdD+3], 0, offen, offset:0,  sc0 sc1 // store D
v_cvt_f32_bf8 v6, v231 src0_sel:BYTE_0   // convert bf8 in lo_byte[0] to f32
_v_mac_f32 v[vgprValuC+232], v6, s[sgprBeta]       // finalSum = sum*alpha + C*beta
v_cmp_class_f32 s[52:53], v[vgprValuC+232], v10    // check NaN and +/-INF
v_med3_f32 v6, v[vgprValuC+232], v8, v9            // Clipping f32 value if exceeds the limit
v_cndmask_b32 v6, v6, v[vgprValuC+232], s[52:53]   // 
v_cvt_pk_bf8_f32  v232, v6, v6                     // convert f32 accumulated values to fp8
buffer_store_byte v232, v230, s[sgprSrdD:sgprSrdD+3], 0, offen, offset:0,  sc0 sc1 // store D
v_cvt_f32_bf8 v6, v234 src0_sel:BYTE_0   // convert bf8 in lo_byte[0] to f32
_v_mac_f32 v[vgprValuC+235], v6, s[sgprBeta]       // finalSum = sum*alpha + C*beta
v_cmp_class_f32 s[52:53], v[vgprValuC+235], v10    // check NaN and +/-INF
v_med3_f32 v6, v[vgprValuC+235], v8, v9            // Clipping f32 value if exceeds the limit
v_cndmask_b32 v6, v6, v[vgprValuC+235], s[52:53]   // 
v_cvt_pk_bf8_f32  v235, v6, v6                     // convert f32 accumulated values to fp8
buffer_store_byte v235, v233, s[sgprSrdD:sgprSrdD+3], 0, offen, offset:0,  sc0 sc1 // store D
v_cvt_f32_bf8 v6, v237 src0_sel:BYTE_0   // convert bf8 in lo_byte[0] to f32
_v_mac_f32 v[vgprValuC+238], v6, s[sgprBeta]       // finalSum = sum*alpha + C*beta
v_cmp_class_f32 s[52:53], v[vgprValuC+238], v10    // check NaN and +/-INF
v_med3_f32 v6, v[vgprValuC+238], v8, v9            // Clipping f32 value if exceeds the limit
v_cndmask_b32 v6, v6, v[vgprValuC+238], s[52:53]   // 
v_cvt_pk_bf8_f32  v238, v6, v6                     // convert f32 accumulated values to fp8
buffer_store_byte v238, v236, s[sgprSrdD:sgprSrdD+3], 0, offen, offset:0,  sc0 sc1 // store D
v_cvt_f32_bf8 v6, v240 src0_sel:BYTE_0   // convert bf8 in lo_byte[0] to f32
_v_mac_f32 v[vgprValuC+241], v6, s[sgprBeta]       // finalSum = sum*alpha + C*beta
v_cmp_class_f32 s[52:53], v[vgprValuC+241], v10    // check NaN and +/-INF
v_med3_f32 v6, v[vgprValuC+241], v8, v9            // Clipping f32 value if exceeds the limit
v_cndmask_b32 v6, v6, v[vgprValuC+241], s[52:53]   // 
v_cvt_pk_bf8_f32  v241, v6, v6                     // convert f32 accumulated values to fp8
buffer_store_byte v241, v239, s[sgprSrdD:sgprSrdD+3], 0, offen, offset:0,  sc0 sc1 // store D
v_cvt_f32_bf8 v6, v243 src0_sel:BYTE_0   // convert bf8 in lo_byte[0] to f32
_v_mac_f32 v[vgprValuC+244], v6, s[sgprBeta]       // finalSum = sum*alpha + C*beta
v_cmp_class_f32 s[52:53], v[vgprValuC+244], v10    // check NaN and +/-INF
v_med3_f32 v6, v[vgprValuC+244], v8, v9            // Clipping f32 value if exceeds the limit
v_cndmask_b32 v6, v6, v[vgprValuC+244], s[52:53]   // 
v_cvt_pk_bf8_f32  v244, v6, v6                     // convert f32 accumulated values to fp8
buffer_store_byte v244, v242, s[sgprSrdD:sgprSrdD+3], 0, offen, offset:0,  sc0 sc1 // store D
v_cvt_f32_bf8 v6, v246 src0_sel:BYTE_0   // convert bf8 in lo_byte[0] to f32
_v_mac_f32 v[vgprValuC+247], v6, s[sgprBeta]       // finalSum = sum*alpha + C*beta
v_cmp_class_f32 s[52:53], v[vgprValuC+247], v10    // check NaN and +/-INF
v_med3_f32 v6, v[vgprValuC+247], v8, v9            // Clipping f32 value if exceeds the limit
v_cndmask_b32 v6, v6, v[vgprValuC+247], s[52:53]   // 
v_cvt_pk_bf8_f32  v247, v6, v6                     // convert f32 accumulated values to fp8
buffer_store_byte v247, v245, s[sgprSrdD:sgprSrdD+3], 0, offen, offset:0,  sc0 sc1 // store D
v_cvt_f32_bf8 v6, v249 src0_sel:BYTE_0   // convert bf8 in lo_byte[0] to f32
_v_mac_f32 v[vgprValuC+250], v6, s[sgprBeta]       // finalSum = sum*alpha + C*beta
v_cmp_class_f32 s[52:53], v[vgprValuC+250], v10    // check NaN and +/-INF
v_med3_f32 v6, v[vgprValuC+250], v8, v9            // Clipping f32 value if exceeds the limit
v_cndmask_b32 v6, v6, v[vgprValuC+250], s[52:53]   // 
v_cvt_pk_bf8_f32  v250, v6, v6                     // convert f32 accumulated values to fp8
buffer_store_byte v250, v248, s[sgprSrdD:sgprSrdD+3], 0, offen, offset:0,  sc0 sc1 // store D
v_cvt_f32_bf8 v6, v252 src0_sel:BYTE_0   // convert bf8 in lo_byte[0] to f32
_v_mac_f32 v[vgprValuC+253], v6, s[sgprBeta]       // finalSum = sum*alpha + C*beta
v_cmp_class_f32 s[52:53], v[vgprValuC+253], v10    // check NaN and +/-INF
v_med3_f32 v6, v[vgprValuC+253], v8, v9            // Clipping f32 value if exceeds the limit
v_cndmask_b32 v6, v6, v[vgprValuC+253], s[52:53]   // 
v_cvt_pk_bf8_f32  v253, v6, v6                     // convert f32 accumulated values to fp8
buffer_store_byte v253, v251, s[sgprSrdD:sgprSrdD+3], 0, offen, offset:0,  sc0 sc1 // store D
s_nop 0                                            // 1 wait state required when next inst writes vgprs held by previous dwordx4 store inst
/* optSingleColVgpr=0 optSharedColVgpr=0 optSGPRUsage=BufferLoad_Edge_Mask optSrdIncForRow=0 */
s_sleep 3 // optimization: sync and wait
s_barrier

/******************************************/
/* Global Write Alpha Beta Edge Batch #1 (d1,d0,vc1,vc0) = */
/*    (2,0,2,0:vw1); (2,1,2,0:vw1); (2,2,2,0:vw1); (2,3,2,0:vw1); (2,4,2,0:vw1); (2,5,2,0:vw1); (2,6,2,0:vw1); (2,7,2,0:vw1); (2,0,3,0:vw1); (2,1,3,0:vw1); (2,2,3,0:vw1); (2,3,3,0:vw1); (2,4,3,0:vw1); (2,5,3,0:vw1); (2,6,3,0:vw1); (2,7,3,0:vw1); (3,0,0,0:vw1); (3,1,0,0:vw1); (3,2,0,0:vw1); (3,3,0,0:vw1); (3,4,0,0:vw1); (3,5,0,0:vw1); (3,6,0,0:vw1); (3,7,0,0:vw1); (3,0,1,0:vw1); (3,1,1,0:vw1); (3,2,1,0:vw1); (3,3,1,0:vw1); (3,4,1,0:vw1); (3,5,1,0:vw1); (3,6,1,0:vw1); (3,7,1,0:vw1); (3,0,2,0:vw1); (3,1,2,0:vw1); (3,2,2,0:vw1); (3,3,2,0:vw1); (3,4,2,0:vw1); (3,5,2,0:vw1); (3,6,2,0:vw1); (3,7,2,0:vw1); (3,0,3,0:vw1); (3,1,3,0:vw1); (3,2,3,0:vw1); (3,3,3,0:vw1); (3,4,3,0:vw1); (3,5,3,0:vw1); (3,6,3,0:vw1); (3,7,3,0:vw1); (4,0,0,0:vw1); (4,1,0,0:vw1); (4,2,0,0:vw1); (4,3,0,0:vw1); (4,4,0,0:vw1); (4,5,0,0:vw1); (4,6,0,0:vw1); (4,7,0,0:vw1); (4,0,1,0:vw1); (4,1,1,0:vw1); (4,2,1,0:vw1); (4,3,1,0:vw1); (4,4,1,0:vw1); (4,5,1,0:vw1); (4,6,1,0:vw1); (4,7,1,0:vw1); (4,0,2,0:vw1); (4,1,2,0:vw1); (4,2,2,0:vw1); (4,3,2,0:vw1); (4,4,2,0:vw1); (4,5,2,0:vw1); (4,6,2,0:vw1); (4,7,2,0:vw1); (4,0,3,0:vw1); (4,1,3,0:vw1); (4,2,3,0:vw1); (4,3,3,0:vw1); (4,4,3,0:vw1); (4,5,3,0:vw1); (4,6,3,0:vw1); (4,7,3,0:vw1) */
/******************************************/

/* calc coords, apply mask, and issue loads (if necessary) */
/* (d1,vc1,d0,vc0)=(2,2,0,0) */
_v_add_co_u32 v1, vcc, v1, 1                       // coord1.1: coord1Vgpr += d1*sg1*VW + vc1

/* Fix for UseInitialStridesCD, emitAddressSetupCode */
_v_add_u32 v2, v2, s[sgprStrideC1J]                // ROWINC- Move cinRowPtr to next row
_v_add_u32 v3, v3, s[sgprStrideD1J]                // Move coutRowPtr to next row
v_cmp_lt_u32 s[52:53], v0, s[sgprSizeI]            // coord0 < size0
v_cmp_lt_u32 s[56:57], v1, s[sgprSizeJ]            // coord1 < size1
s_and_b64 s[56:57], s[52:53], s[56:57]             // in0 && in1
_v_add_lshl_u32 v11, v2, v0, 0x0                   // scaleToBpe: accumulate d0 lower and *= bpe into Cin addr
v_cndmask_b32 v11, -1, v11, s[56:57]               // LDC clip if OOB. offset
buffer_load_ubyte v12, v11, s[sgprSrdC:sgprSrdC+3], 0, offen offset:0,  sc0 sc1 // load C for beta calc
_v_add_lshl_u32 v11, v3, v0, 0x0                   // scaleToBpe: accumulate d0 lower and *= bpe into Cin addr
v_cndmask_b32 v11, -1, v11, s[56:57]               // LDD clip if OOB. offset
/* (d1,vc1,d0,vc0)=(2,2,1,0) */
_v_add_co_u32 v4, vcc, v0, 32                      // coord0.1: coord0 += d0*sg0*VW + vc0
v_cmp_lt_u32 s[52:53], v4, s[sgprSizeI]            // coord0 < size0
v_cmp_lt_u32 s[56:57], v1, s[sgprSizeJ]            // coord1 < size1
s_and_b64 s[56:57], s[52:53], s[56:57]             // in0 && in1
_v_add_lshl_u32 v14, v2, v4, 0x0                   // scaleToBpe: accumulate d0 lower and *= bpe into Cin addr
v_cndmask_b32 v14, -1, v14, s[56:57]               // LDC clip if OOB. offset
buffer_load_ubyte v15, v14, s[sgprSrdC:sgprSrdC+3], 0, offen offset:0,  sc0 sc1 // load C for beta calc
_v_add_lshl_u32 v14, v3, v4, 0x0                   // scaleToBpe: accumulate d0 lower and *= bpe into Cin addr
v_cndmask_b32 v14, -1, v14, s[56:57]               // LDD clip if OOB. offset
/* (d1,vc1,d0,vc0)=(2,2,2,0) */
_v_add_co_u32 v4, vcc, v0, 64                      // coord0.1: coord0 += d0*sg0*VW + vc0
v_cmp_lt_u32 s[52:53], v4, s[sgprSizeI]            // coord0 < size0
v_cmp_lt_u32 s[56:57], v1, s[sgprSizeJ]            // coord1 < size1
s_and_b64 s[56:57], s[52:53], s[56:57]             // in0 && in1
_v_add_lshl_u32 v17, v2, v4, 0x0                   // scaleToBpe: accumulate d0 lower and *= bpe into Cin addr
v_cndmask_b32 v17, -1, v17, s[56:57]               // LDC clip if OOB. offset
buffer_load_ubyte v18, v17, s[sgprSrdC:sgprSrdC+3], 0, offen offset:0,  sc0 sc1 // load C for beta calc
_v_add_lshl_u32 v17, v3, v4, 0x0                   // scaleToBpe: accumulate d0 lower and *= bpe into Cin addr
v_cndmask_b32 v17, -1, v17, s[56:57]               // LDD clip if OOB. offset
/* (d1,vc1,d0,vc0)=(2,2,3,0) */
s_mov_b32 s52, 96                                  // coordOffset0 d0=3 vc0=0
_v_add_co_u32 v4, vcc, v0, s52                     // coord0.2: coord0 += d0*sg0*VW + vc0
v_cmp_lt_u32 s[52:53], v4, s[sgprSizeI]            // coord0 < size0
v_cmp_lt_u32 s[56:57], v1, s[sgprSizeJ]            // coord1 < size1
s_and_b64 s[56:57], s[52:53], s[56:57]             // in0 && in1
_v_add_lshl_u32 v20, v2, v4, 0x0                   // scaleToBpe: accumulate d0 lower and *= bpe into Cin addr
v_cndmask_b32 v20, -1, v20, s[56:57]               // LDC clip if OOB. offset
buffer_load_ubyte v21, v20, s[sgprSrdC:sgprSrdC+3], 0, offen offset:0,  sc0 sc1 // load C for beta calc
_v_add_lshl_u32 v20, v3, v4, 0x0                   // scaleToBpe: accumulate d0 lower and *= bpe into Cin addr
v_cndmask_b32 v20, -1, v20, s[56:57]               // LDD clip if OOB. offset
/* (d1,vc1,d0,vc0)=(2,2,4,0) */
s_mov_b32 s52, 128                                 // coordOffset0 d0=4 vc0=0
_v_add_co_u32 v4, vcc, v0, s52                     // coord0.2: coord0 += d0*sg0*VW + vc0
v_cmp_lt_u32 s[52:53], v4, s[sgprSizeI]            // coord0 < size0
v_cmp_lt_u32 s[56:57], v1, s[sgprSizeJ]            // coord1 < size1
s_and_b64 s[56:57], s[52:53], s[56:57]             // in0 && in1
_v_add_lshl_u32 v23, v2, v4, 0x0                   // scaleToBpe: accumulate d0 lower and *= bpe into Cin addr
v_cndmask_b32 v23, -1, v23, s[56:57]               // LDC clip if OOB. offset
buffer_load_ubyte v24, v23, s[sgprSrdC:sgprSrdC+3], 0, offen offset:0,  sc0 sc1 // load C for beta calc
_v_add_lshl_u32 v23, v3, v4, 0x0                   // scaleToBpe: accumulate d0 lower and *= bpe into Cin addr
v_cndmask_b32 v23, -1, v23, s[56:57]               // LDD clip if OOB. offset
/* (d1,vc1,d0,vc0)=(2,2,5,0) */
s_mov_b32 s52, 160                                 // coordOffset0 d0=5 vc0=0
	;; [unrolled: 11-line block ×4, first 2 shown]
_v_add_co_u32 v4, vcc, v0, s52                     // coord0.2: coord0 += d0*sg0*VW + vc0
v_cmp_lt_u32 s[52:53], v4, s[sgprSizeI]            // coord0 < size0
v_cmp_lt_u32 s[56:57], v1, s[sgprSizeJ]            // coord1 < size1
s_and_b64 s[56:57], s[52:53], s[56:57]             // in0 && in1
_v_add_lshl_u32 v32, v2, v4, 0x0                   // scaleToBpe: accumulate d0 lower and *= bpe into Cin addr
v_cndmask_b32 v32, -1, v32, s[56:57]               // LDC clip if OOB. offset
buffer_load_ubyte v33, v32, s[sgprSrdC:sgprSrdC+3], 0, offen offset:0,  sc0 sc1 // load C for beta calc
_v_add_lshl_u32 v32, v3, v4, 0x0                   // scaleToBpe: accumulate d0 lower and *= bpe into Cin addr
v_cndmask_b32 v32, -1, v32, s[56:57]               // LDD clip if OOB. offset
/* (d1,vc1,d0,vc0)=(2,3,0,0) */
_v_add_co_u32 v1, vcc, v1, 1                       // coord1.1: coord1Vgpr += d1*sg1*VW + vc1

/* Fix for UseInitialStridesCD, emitAddressSetupCode */
_v_add_u32 v2, v2, s[sgprStrideC1J]                // ROWINC- Move cinRowPtr to next row
_v_add_u32 v3, v3, s[sgprStrideD1J]                // Move coutRowPtr to next row
v_cmp_lt_u32 s[52:53], v0, s[sgprSizeI]            // coord0 < size0
v_cmp_lt_u32 s[56:57], v1, s[sgprSizeJ]            // coord1 < size1
s_and_b64 s[56:57], s[52:53], s[56:57]             // in0 && in1
_v_add_lshl_u32 v35, v2, v0, 0x0                   // scaleToBpe: accumulate d0 lower and *= bpe into Cin addr
v_cndmask_b32 v35, -1, v35, s[56:57]               // LDC clip if OOB. offset
buffer_load_ubyte v36, v35, s[sgprSrdC:sgprSrdC+3], 0, offen offset:0,  sc0 sc1 // load C for beta calc
_v_add_lshl_u32 v35, v3, v0, 0x0                   // scaleToBpe: accumulate d0 lower and *= bpe into Cin addr
v_cndmask_b32 v35, -1, v35, s[56:57]               // LDD clip if OOB. offset
/* (d1,vc1,d0,vc0)=(2,3,1,0) */
_v_add_co_u32 v4, vcc, v0, 32                      // coord0.1: coord0 += d0*sg0*VW + vc0
v_cmp_lt_u32 s[52:53], v4, s[sgprSizeI]            // coord0 < size0
v_cmp_lt_u32 s[56:57], v1, s[sgprSizeJ]            // coord1 < size1
s_and_b64 s[56:57], s[52:53], s[56:57]             // in0 && in1
_v_add_lshl_u32 v38, v2, v4, 0x0                   // scaleToBpe: accumulate d0 lower and *= bpe into Cin addr
v_cndmask_b32 v38, -1, v38, s[56:57]               // LDC clip if OOB. offset
buffer_load_ubyte v39, v38, s[sgprSrdC:sgprSrdC+3], 0, offen offset:0,  sc0 sc1 // load C for beta calc
_v_add_lshl_u32 v38, v3, v4, 0x0                   // scaleToBpe: accumulate d0 lower and *= bpe into Cin addr
v_cndmask_b32 v38, -1, v38, s[56:57]               // LDD clip if OOB. offset
/* (d1,vc1,d0,vc0)=(2,3,2,0) */
_v_add_co_u32 v4, vcc, v0, 64                      // coord0.1: coord0 += d0*sg0*VW + vc0
v_cmp_lt_u32 s[52:53], v4, s[sgprSizeI]            // coord0 < size0
v_cmp_lt_u32 s[56:57], v1, s[sgprSizeJ]            // coord1 < size1
s_and_b64 s[56:57], s[52:53], s[56:57]             // in0 && in1
_v_add_lshl_u32 v41, v2, v4, 0x0                   // scaleToBpe: accumulate d0 lower and *= bpe into Cin addr
v_cndmask_b32 v41, -1, v41, s[56:57]               // LDC clip if OOB. offset
buffer_load_ubyte v42, v41, s[sgprSrdC:sgprSrdC+3], 0, offen offset:0,  sc0 sc1 // load C for beta calc
_v_add_lshl_u32 v41, v3, v4, 0x0                   // scaleToBpe: accumulate d0 lower and *= bpe into Cin addr
v_cndmask_b32 v41, -1, v41, s[56:57]               // LDD clip if OOB. offset
/* (d1,vc1,d0,vc0)=(2,3,3,0) */
s_mov_b32 s52, 96                                  // coordOffset0 d0=3 vc0=0
_v_add_co_u32 v4, vcc, v0, s52                     // coord0.2: coord0 += d0*sg0*VW + vc0
v_cmp_lt_u32 s[52:53], v4, s[sgprSizeI]            // coord0 < size0
v_cmp_lt_u32 s[56:57], v1, s[sgprSizeJ]            // coord1 < size1
s_and_b64 s[56:57], s[52:53], s[56:57]             // in0 && in1
_v_add_lshl_u32 v44, v2, v4, 0x0                   // scaleToBpe: accumulate d0 lower and *= bpe into Cin addr
v_cndmask_b32 v44, -1, v44, s[56:57]               // LDC clip if OOB. offset
buffer_load_ubyte v45, v44, s[sgprSrdC:sgprSrdC+3], 0, offen offset:0,  sc0 sc1 // load C for beta calc
_v_add_lshl_u32 v44, v3, v4, 0x0                   // scaleToBpe: accumulate d0 lower and *= bpe into Cin addr
v_cndmask_b32 v44, -1, v44, s[56:57]               // LDD clip if OOB. offset
/* (d1,vc1,d0,vc0)=(2,3,4,0) */
s_mov_b32 s52, 128                                 // coordOffset0 d0=4 vc0=0
_v_add_co_u32 v4, vcc, v0, s52                     // coord0.2: coord0 += d0*sg0*VW + vc0
v_cmp_lt_u32 s[52:53], v4, s[sgprSizeI]            // coord0 < size0
v_cmp_lt_u32 s[56:57], v1, s[sgprSizeJ]            // coord1 < size1
s_and_b64 s[56:57], s[52:53], s[56:57]             // in0 && in1
_v_add_lshl_u32 v47, v2, v4, 0x0                   // scaleToBpe: accumulate d0 lower and *= bpe into Cin addr
v_cndmask_b32 v47, -1, v47, s[56:57]               // LDC clip if OOB. offset
buffer_load_ubyte v48, v47, s[sgprSrdC:sgprSrdC+3], 0, offen offset:0,  sc0 sc1 // load C for beta calc
_v_add_lshl_u32 v47, v3, v4, 0x0                   // scaleToBpe: accumulate d0 lower and *= bpe into Cin addr
v_cndmask_b32 v47, -1, v47, s[56:57]               // LDD clip if OOB. offset
/* (d1,vc1,d0,vc0)=(2,3,5,0) */
s_mov_b32 s52, 160                                 // coordOffset0 d0=5 vc0=0
	;; [unrolled: 11-line block ×4, first 2 shown]
_v_add_co_u32 v4, vcc, v0, s52                     // coord0.2: coord0 += d0*sg0*VW + vc0
v_cmp_lt_u32 s[52:53], v4, s[sgprSizeI]            // coord0 < size0
v_cmp_lt_u32 s[56:57], v1, s[sgprSizeJ]            // coord1 < size1
s_and_b64 s[56:57], s[52:53], s[56:57]             // in0 && in1
_v_add_lshl_u32 v56, v2, v4, 0x0                   // scaleToBpe: accumulate d0 lower and *= bpe into Cin addr
v_cndmask_b32 v56, -1, v56, s[56:57]               // LDC clip if OOB. offset
buffer_load_ubyte v57, v56, s[sgprSrdC:sgprSrdC+3], 0, offen offset:0,  sc0 sc1 // load C for beta calc
_v_add_lshl_u32 v56, v3, v4, 0x0                   // scaleToBpe: accumulate d0 lower and *= bpe into Cin addr
v_cndmask_b32 v56, -1, v56, s[56:57]               // LDD clip if OOB. offset
/* (d1,vc1,d0,vc0)=(3,0,0,0) */
_v_add_co_u32 v1, vcc, v1, 5                       // coord1.1: coord1Vgpr += d1*sg1*VW + vc1

/* Fix for UseInitialStridesCD, emitAddressSetupCode */
s_mul_i32 s52, s[sgprStrideC1J], 5                 // scale stride
_v_add_u32 v2, v2, s52                             // ROWINC- Move cinRowPtr to next row
s_mul_i32 s52, s[sgprStrideD1J], 5                 // scale stride
_v_add_u32 v3, v3, s52                             // Move coutRowPtr to next row
v_cmp_lt_u32 s[52:53], v0, s[sgprSizeI]            // coord0 < size0
v_cmp_lt_u32 s[56:57], v1, s[sgprSizeJ]            // coord1 < size1
s_and_b64 s[56:57], s[52:53], s[56:57]             // in0 && in1
_v_add_lshl_u32 v59, v2, v0, 0x0                   // scaleToBpe: accumulate d0 lower and *= bpe into Cin addr
v_cndmask_b32 v59, -1, v59, s[56:57]               // LDC clip if OOB. offset
buffer_load_ubyte v60, v59, s[sgprSrdC:sgprSrdC+3], 0, offen offset:0,  sc0 sc1 // load C for beta calc
_v_add_lshl_u32 v59, v3, v0, 0x0                   // scaleToBpe: accumulate d0 lower and *= bpe into Cin addr
v_cndmask_b32 v59, -1, v59, s[56:57]               // LDD clip if OOB. offset
/* (d1,vc1,d0,vc0)=(3,0,1,0) */
_v_add_co_u32 v4, vcc, v0, 32                      // coord0.1: coord0 += d0*sg0*VW + vc0
v_cmp_lt_u32 s[52:53], v4, s[sgprSizeI]            // coord0 < size0
v_cmp_lt_u32 s[56:57], v1, s[sgprSizeJ]            // coord1 < size1
s_and_b64 s[56:57], s[52:53], s[56:57]             // in0 && in1
_v_add_lshl_u32 v62, v2, v4, 0x0                   // scaleToBpe: accumulate d0 lower and *= bpe into Cin addr
v_cndmask_b32 v62, -1, v62, s[56:57]               // LDC clip if OOB. offset
buffer_load_ubyte v63, v62, s[sgprSrdC:sgprSrdC+3], 0, offen offset:0,  sc0 sc1 // load C for beta calc
_v_add_lshl_u32 v62, v3, v4, 0x0                   // scaleToBpe: accumulate d0 lower and *= bpe into Cin addr
v_cndmask_b32 v62, -1, v62, s[56:57]               // LDD clip if OOB. offset
/* (d1,vc1,d0,vc0)=(3,0,2,0) */
_v_add_co_u32 v4, vcc, v0, 64                      // coord0.1: coord0 += d0*sg0*VW + vc0
v_cmp_lt_u32 s[52:53], v4, s[sgprSizeI]            // coord0 < size0
v_cmp_lt_u32 s[56:57], v1, s[sgprSizeJ]            // coord1 < size1
s_and_b64 s[56:57], s[52:53], s[56:57]             // in0 && in1
_v_add_lshl_u32 v65, v2, v4, 0x0                   // scaleToBpe: accumulate d0 lower and *= bpe into Cin addr
v_cndmask_b32 v65, -1, v65, s[56:57]               // LDC clip if OOB. offset
buffer_load_ubyte v66, v65, s[sgprSrdC:sgprSrdC+3], 0, offen offset:0,  sc0 sc1 // load C for beta calc
_v_add_lshl_u32 v65, v3, v4, 0x0                   // scaleToBpe: accumulate d0 lower and *= bpe into Cin addr
v_cndmask_b32 v65, -1, v65, s[56:57]               // LDD clip if OOB. offset
/* (d1,vc1,d0,vc0)=(3,0,3,0) */
s_mov_b32 s52, 96                                  // coordOffset0 d0=3 vc0=0
_v_add_co_u32 v4, vcc, v0, s52                     // coord0.2: coord0 += d0*sg0*VW + vc0
v_cmp_lt_u32 s[52:53], v4, s[sgprSizeI]            // coord0 < size0
v_cmp_lt_u32 s[56:57], v1, s[sgprSizeJ]            // coord1 < size1
s_and_b64 s[56:57], s[52:53], s[56:57]             // in0 && in1
_v_add_lshl_u32 v68, v2, v4, 0x0                   // scaleToBpe: accumulate d0 lower and *= bpe into Cin addr
v_cndmask_b32 v68, -1, v68, s[56:57]               // LDC clip if OOB. offset
buffer_load_ubyte v69, v68, s[sgprSrdC:sgprSrdC+3], 0, offen offset:0,  sc0 sc1 // load C for beta calc
_v_add_lshl_u32 v68, v3, v4, 0x0                   // scaleToBpe: accumulate d0 lower and *= bpe into Cin addr
v_cndmask_b32 v68, -1, v68, s[56:57]               // LDD clip if OOB. offset
/* (d1,vc1,d0,vc0)=(3,0,4,0) */
s_mov_b32 s52, 128                                 // coordOffset0 d0=4 vc0=0
_v_add_co_u32 v4, vcc, v0, s52                     // coord0.2: coord0 += d0*sg0*VW + vc0
v_cmp_lt_u32 s[52:53], v4, s[sgprSizeI]            // coord0 < size0
v_cmp_lt_u32 s[56:57], v1, s[sgprSizeJ]            // coord1 < size1
s_and_b64 s[56:57], s[52:53], s[56:57]             // in0 && in1
_v_add_lshl_u32 v71, v2, v4, 0x0                   // scaleToBpe: accumulate d0 lower and *= bpe into Cin addr
v_cndmask_b32 v71, -1, v71, s[56:57]               // LDC clip if OOB. offset
buffer_load_ubyte v72, v71, s[sgprSrdC:sgprSrdC+3], 0, offen offset:0,  sc0 sc1 // load C for beta calc
_v_add_lshl_u32 v71, v3, v4, 0x0                   // scaleToBpe: accumulate d0 lower and *= bpe into Cin addr
v_cndmask_b32 v71, -1, v71, s[56:57]               // LDD clip if OOB. offset
/* (d1,vc1,d0,vc0)=(3,0,5,0) */
s_mov_b32 s52, 160                                 // coordOffset0 d0=5 vc0=0
	;; [unrolled: 11-line block ×4, first 2 shown]
_v_add_co_u32 v4, vcc, v0, s52                     // coord0.2: coord0 += d0*sg0*VW + vc0
v_cmp_lt_u32 s[52:53], v4, s[sgprSizeI]            // coord0 < size0
v_cmp_lt_u32 s[56:57], v1, s[sgprSizeJ]            // coord1 < size1
s_and_b64 s[56:57], s[52:53], s[56:57]             // in0 && in1
_v_add_lshl_u32 v80, v2, v4, 0x0                   // scaleToBpe: accumulate d0 lower and *= bpe into Cin addr
v_cndmask_b32 v80, -1, v80, s[56:57]               // LDC clip if OOB. offset
buffer_load_ubyte v81, v80, s[sgprSrdC:sgprSrdC+3], 0, offen offset:0,  sc0 sc1 // load C for beta calc
_v_add_lshl_u32 v80, v3, v4, 0x0                   // scaleToBpe: accumulate d0 lower and *= bpe into Cin addr
v_cndmask_b32 v80, -1, v80, s[56:57]               // LDD clip if OOB. offset
/* (d1,vc1,d0,vc0)=(3,1,0,0) */
_v_add_co_u32 v1, vcc, v1, 1                       // coord1.1: coord1Vgpr += d1*sg1*VW + vc1

/* Fix for UseInitialStridesCD, emitAddressSetupCode */
_v_add_u32 v2, v2, s[sgprStrideC1J]                // ROWINC- Move cinRowPtr to next row
_v_add_u32 v3, v3, s[sgprStrideD1J]                // Move coutRowPtr to next row
v_cmp_lt_u32 s[52:53], v0, s[sgprSizeI]            // coord0 < size0
v_cmp_lt_u32 s[56:57], v1, s[sgprSizeJ]            // coord1 < size1
s_and_b64 s[56:57], s[52:53], s[56:57]             // in0 && in1
_v_add_lshl_u32 v83, v2, v0, 0x0                   // scaleToBpe: accumulate d0 lower and *= bpe into Cin addr
v_cndmask_b32 v83, -1, v83, s[56:57]               // LDC clip if OOB. offset
buffer_load_ubyte v84, v83, s[sgprSrdC:sgprSrdC+3], 0, offen offset:0,  sc0 sc1 // load C for beta calc
_v_add_lshl_u32 v83, v3, v0, 0x0                   // scaleToBpe: accumulate d0 lower and *= bpe into Cin addr
v_cndmask_b32 v83, -1, v83, s[56:57]               // LDD clip if OOB. offset
/* (d1,vc1,d0,vc0)=(3,1,1,0) */
_v_add_co_u32 v4, vcc, v0, 32                      // coord0.1: coord0 += d0*sg0*VW + vc0
v_cmp_lt_u32 s[52:53], v4, s[sgprSizeI]            // coord0 < size0
v_cmp_lt_u32 s[56:57], v1, s[sgprSizeJ]            // coord1 < size1
s_and_b64 s[56:57], s[52:53], s[56:57]             // in0 && in1
_v_add_lshl_u32 v86, v2, v4, 0x0                   // scaleToBpe: accumulate d0 lower and *= bpe into Cin addr
v_cndmask_b32 v86, -1, v86, s[56:57]               // LDC clip if OOB. offset
buffer_load_ubyte v87, v86, s[sgprSrdC:sgprSrdC+3], 0, offen offset:0,  sc0 sc1 // load C for beta calc
_v_add_lshl_u32 v86, v3, v4, 0x0                   // scaleToBpe: accumulate d0 lower and *= bpe into Cin addr
v_cndmask_b32 v86, -1, v86, s[56:57]               // LDD clip if OOB. offset
/* (d1,vc1,d0,vc0)=(3,1,2,0) */
_v_add_co_u32 v4, vcc, v0, 64                      // coord0.1: coord0 += d0*sg0*VW + vc0
v_cmp_lt_u32 s[52:53], v4, s[sgprSizeI]            // coord0 < size0
v_cmp_lt_u32 s[56:57], v1, s[sgprSizeJ]            // coord1 < size1
s_and_b64 s[56:57], s[52:53], s[56:57]             // in0 && in1
_v_add_lshl_u32 v89, v2, v4, 0x0                   // scaleToBpe: accumulate d0 lower and *= bpe into Cin addr
v_cndmask_b32 v89, -1, v89, s[56:57]               // LDC clip if OOB. offset
buffer_load_ubyte v90, v89, s[sgprSrdC:sgprSrdC+3], 0, offen offset:0,  sc0 sc1 // load C for beta calc
_v_add_lshl_u32 v89, v3, v4, 0x0                   // scaleToBpe: accumulate d0 lower and *= bpe into Cin addr
v_cndmask_b32 v89, -1, v89, s[56:57]               // LDD clip if OOB. offset
/* (d1,vc1,d0,vc0)=(3,1,3,0) */
s_mov_b32 s52, 96                                  // coordOffset0 d0=3 vc0=0
_v_add_co_u32 v4, vcc, v0, s52                     // coord0.2: coord0 += d0*sg0*VW + vc0
v_cmp_lt_u32 s[52:53], v4, s[sgprSizeI]            // coord0 < size0
v_cmp_lt_u32 s[56:57], v1, s[sgprSizeJ]            // coord1 < size1
s_and_b64 s[56:57], s[52:53], s[56:57]             // in0 && in1
_v_add_lshl_u32 v92, v2, v4, 0x0                   // scaleToBpe: accumulate d0 lower and *= bpe into Cin addr
v_cndmask_b32 v92, -1, v92, s[56:57]               // LDC clip if OOB. offset
buffer_load_ubyte v93, v92, s[sgprSrdC:sgprSrdC+3], 0, offen offset:0,  sc0 sc1 // load C for beta calc
_v_add_lshl_u32 v92, v3, v4, 0x0                   // scaleToBpe: accumulate d0 lower and *= bpe into Cin addr
v_cndmask_b32 v92, -1, v92, s[56:57]               // LDD clip if OOB. offset
/* (d1,vc1,d0,vc0)=(3,1,4,0) */
s_mov_b32 s52, 128                                 // coordOffset0 d0=4 vc0=0
_v_add_co_u32 v4, vcc, v0, s52                     // coord0.2: coord0 += d0*sg0*VW + vc0
v_cmp_lt_u32 s[52:53], v4, s[sgprSizeI]            // coord0 < size0
v_cmp_lt_u32 s[56:57], v1, s[sgprSizeJ]            // coord1 < size1
s_and_b64 s[56:57], s[52:53], s[56:57]             // in0 && in1
_v_add_lshl_u32 v95, v2, v4, 0x0                   // scaleToBpe: accumulate d0 lower and *= bpe into Cin addr
v_cndmask_b32 v95, -1, v95, s[56:57]               // LDC clip if OOB. offset
buffer_load_ubyte v96, v95, s[sgprSrdC:sgprSrdC+3], 0, offen offset:0,  sc0 sc1 // load C for beta calc
_v_add_lshl_u32 v95, v3, v4, 0x0                   // scaleToBpe: accumulate d0 lower and *= bpe into Cin addr
v_cndmask_b32 v95, -1, v95, s[56:57]               // LDD clip if OOB. offset
/* (d1,vc1,d0,vc0)=(3,1,5,0) */
s_mov_b32 s52, 160                                 // coordOffset0 d0=5 vc0=0
	;; [unrolled: 11-line block ×3, first 2 shown]
_v_add_co_u32 v4, vcc, v0, s52                     // coord0.2: coord0 += d0*sg0*VW + vc0
v_cmp_lt_u32 s[52:53], v4, s[sgprSizeI]            // coord0 < size0
v_cmp_lt_u32 s[56:57], v1, s[sgprSizeJ]            // coord1 < size1
s_and_b64 s[56:57], s[52:53], s[56:57]             // in0 && in1
_v_add_lshl_u32 v101, v2, v4, 0x0                  // scaleToBpe: accumulate d0 lower and *= bpe into Cin addr
v_cndmask_b32 v101, -1, v101, s[56:57]             // LDC clip if OOB. offset
buffer_load_ubyte v102, v101, s[sgprSrdC:sgprSrdC+3], 0, offen offset:0,  sc0 sc1 // load C for beta calc
_v_add_lshl_u32 v101, v3, v4, 0x0                  // scaleToBpe: accumulate d0 lower and *= bpe into Cin addr
v_cndmask_b32 v101, -1, v101, s[56:57]             // LDD clip if OOB. offset
/* (d1,vc1,d0,vc0)=(3,1,7,0) */
s_mov_b32 s52, 224                                 // coordOffset0 d0=7 vc0=0
_v_add_co_u32 v4, vcc, v0, s52                     // coord0.2: coord0 += d0*sg0*VW + vc0
v_cmp_lt_u32 s[52:53], v4, s[sgprSizeI]            // coord0 < size0
v_cmp_lt_u32 s[56:57], v1, s[sgprSizeJ]            // coord1 < size1
s_and_b64 s[56:57], s[52:53], s[56:57]             // in0 && in1
_v_add_lshl_u32 v104, v2, v4, 0x0                  // scaleToBpe: accumulate d0 lower and *= bpe into Cin addr
v_cndmask_b32 v104, -1, v104, s[56:57]             // LDC clip if OOB. offset
buffer_load_ubyte v105, v104, s[sgprSrdC:sgprSrdC+3], 0, offen offset:0,  sc0 sc1 // load C for beta calc
_v_add_lshl_u32 v104, v3, v4, 0x0                  // scaleToBpe: accumulate d0 lower and *= bpe into Cin addr
v_cndmask_b32 v104, -1, v104, s[56:57]             // LDD clip if OOB. offset
/* (d1,vc1,d0,vc0)=(3,2,0,0) */
_v_add_co_u32 v1, vcc, v1, 1                       // coord1.1: coord1Vgpr += d1*sg1*VW + vc1

/* Fix for UseInitialStridesCD, emitAddressSetupCode */
_v_add_u32 v2, v2, s[sgprStrideC1J]                // ROWINC- Move cinRowPtr to next row
_v_add_u32 v3, v3, s[sgprStrideD1J]                // Move coutRowPtr to next row
v_cmp_lt_u32 s[52:53], v0, s[sgprSizeI]            // coord0 < size0
v_cmp_lt_u32 s[56:57], v1, s[sgprSizeJ]            // coord1 < size1
s_and_b64 s[56:57], s[52:53], s[56:57]             // in0 && in1
_v_add_lshl_u32 v107, v2, v0, 0x0                  // scaleToBpe: accumulate d0 lower and *= bpe into Cin addr
v_cndmask_b32 v107, -1, v107, s[56:57]             // LDC clip if OOB. offset
buffer_load_ubyte v108, v107, s[sgprSrdC:sgprSrdC+3], 0, offen offset:0,  sc0 sc1 // load C for beta calc
_v_add_lshl_u32 v107, v3, v0, 0x0                  // scaleToBpe: accumulate d0 lower and *= bpe into Cin addr
v_cndmask_b32 v107, -1, v107, s[56:57]             // LDD clip if OOB. offset
/* (d1,vc1,d0,vc0)=(3,2,1,0) */
_v_add_co_u32 v4, vcc, v0, 32                      // coord0.1: coord0 += d0*sg0*VW + vc0
v_cmp_lt_u32 s[52:53], v4, s[sgprSizeI]            // coord0 < size0
v_cmp_lt_u32 s[56:57], v1, s[sgprSizeJ]            // coord1 < size1
s_and_b64 s[56:57], s[52:53], s[56:57]             // in0 && in1
_v_add_lshl_u32 v110, v2, v4, 0x0                  // scaleToBpe: accumulate d0 lower and *= bpe into Cin addr
v_cndmask_b32 v110, -1, v110, s[56:57]             // LDC clip if OOB. offset
buffer_load_ubyte v111, v110, s[sgprSrdC:sgprSrdC+3], 0, offen offset:0,  sc0 sc1 // load C for beta calc
_v_add_lshl_u32 v110, v3, v4, 0x0                  // scaleToBpe: accumulate d0 lower and *= bpe into Cin addr
v_cndmask_b32 v110, -1, v110, s[56:57]             // LDD clip if OOB. offset
/* (d1,vc1,d0,vc0)=(3,2,2,0) */
_v_add_co_u32 v4, vcc, v0, 64                      // coord0.1: coord0 += d0*sg0*VW + vc0
v_cmp_lt_u32 s[52:53], v4, s[sgprSizeI]            // coord0 < size0
v_cmp_lt_u32 s[56:57], v1, s[sgprSizeJ]            // coord1 < size1
s_and_b64 s[56:57], s[52:53], s[56:57]             // in0 && in1
_v_add_lshl_u32 v113, v2, v4, 0x0                  // scaleToBpe: accumulate d0 lower and *= bpe into Cin addr
v_cndmask_b32 v113, -1, v113, s[56:57]             // LDC clip if OOB. offset
buffer_load_ubyte v114, v113, s[sgprSrdC:sgprSrdC+3], 0, offen offset:0,  sc0 sc1 // load C for beta calc
_v_add_lshl_u32 v113, v3, v4, 0x0                  // scaleToBpe: accumulate d0 lower and *= bpe into Cin addr
v_cndmask_b32 v113, -1, v113, s[56:57]             // LDD clip if OOB. offset
/* (d1,vc1,d0,vc0)=(3,2,3,0) */
s_mov_b32 s52, 96                                  // coordOffset0 d0=3 vc0=0
_v_add_co_u32 v4, vcc, v0, s52                     // coord0.2: coord0 += d0*sg0*VW + vc0
v_cmp_lt_u32 s[52:53], v4, s[sgprSizeI]            // coord0 < size0
v_cmp_lt_u32 s[56:57], v1, s[sgprSizeJ]            // coord1 < size1
s_and_b64 s[56:57], s[52:53], s[56:57]             // in0 && in1
_v_add_lshl_u32 v119, v2, v4, 0x0                  // scaleToBpe: accumulate d0 lower and *= bpe into Cin addr
v_cndmask_b32 v119, -1, v119, s[56:57]             // LDC clip if OOB. offset
buffer_load_ubyte v120, v119, s[sgprSrdC:sgprSrdC+3], 0, offen offset:0,  sc0 sc1 // load C for beta calc
_v_add_lshl_u32 v119, v3, v4, 0x0                  // scaleToBpe: accumulate d0 lower and *= bpe into Cin addr
v_cndmask_b32 v119, -1, v119, s[56:57]             // LDD clip if OOB. offset
/* (d1,vc1,d0,vc0)=(3,2,4,0) */
s_mov_b32 s52, 128                                 // coordOffset0 d0=4 vc0=0
_v_add_co_u32 v4, vcc, v0, s52                     // coord0.2: coord0 += d0*sg0*VW + vc0
v_cmp_lt_u32 s[52:53], v4, s[sgprSizeI]            // coord0 < size0
v_cmp_lt_u32 s[56:57], v1, s[sgprSizeJ]            // coord1 < size1
s_and_b64 s[56:57], s[52:53], s[56:57]             // in0 && in1
_v_add_lshl_u32 v122, v2, v4, 0x0                  // scaleToBpe: accumulate d0 lower and *= bpe into Cin addr
v_cndmask_b32 v122, -1, v122, s[56:57]             // LDC clip if OOB. offset
buffer_load_ubyte v123, v122, s[sgprSrdC:sgprSrdC+3], 0, offen offset:0,  sc0 sc1 // load C for beta calc
_v_add_lshl_u32 v122, v3, v4, 0x0                  // scaleToBpe: accumulate d0 lower and *= bpe into Cin addr
v_cndmask_b32 v122, -1, v122, s[56:57]             // LDD clip if OOB. offset
/* (d1,vc1,d0,vc0)=(3,2,5,0) */
s_mov_b32 s52, 160                                 // coordOffset0 d0=5 vc0=0
	;; [unrolled: 11-line block ×4, first 2 shown]
_v_add_co_u32 v4, vcc, v0, s52                     // coord0.2: coord0 += d0*sg0*VW + vc0
v_cmp_lt_u32 s[52:53], v4, s[sgprSizeI]            // coord0 < size0
v_cmp_lt_u32 s[56:57], v1, s[sgprSizeJ]            // coord1 < size1
s_and_b64 s[56:57], s[52:53], s[56:57]             // in0 && in1
_v_add_lshl_u32 v131, v2, v4, 0x0                  // scaleToBpe: accumulate d0 lower and *= bpe into Cin addr
v_cndmask_b32 v131, -1, v131, s[56:57]             // LDC clip if OOB. offset
buffer_load_ubyte v132, v131, s[sgprSrdC:sgprSrdC+3], 0, offen offset:0,  sc0 sc1 // load C for beta calc
_v_add_lshl_u32 v131, v3, v4, 0x0                  // scaleToBpe: accumulate d0 lower and *= bpe into Cin addr
v_cndmask_b32 v131, -1, v131, s[56:57]             // LDD clip if OOB. offset
/* (d1,vc1,d0,vc0)=(3,3,0,0) */
_v_add_co_u32 v1, vcc, v1, 1                       // coord1.1: coord1Vgpr += d1*sg1*VW + vc1

/* Fix for UseInitialStridesCD, emitAddressSetupCode */
_v_add_u32 v2, v2, s[sgprStrideC1J]                // ROWINC- Move cinRowPtr to next row
_v_add_u32 v3, v3, s[sgprStrideD1J]                // Move coutRowPtr to next row
v_cmp_lt_u32 s[52:53], v0, s[sgprSizeI]            // coord0 < size0
v_cmp_lt_u32 s[56:57], v1, s[sgprSizeJ]            // coord1 < size1
s_and_b64 s[56:57], s[52:53], s[56:57]             // in0 && in1
_v_add_lshl_u32 v134, v2, v0, 0x0                  // scaleToBpe: accumulate d0 lower and *= bpe into Cin addr
v_cndmask_b32 v134, -1, v134, s[56:57]             // LDC clip if OOB. offset
buffer_load_ubyte v135, v134, s[sgprSrdC:sgprSrdC+3], 0, offen offset:0,  sc0 sc1 // load C for beta calc
_v_add_lshl_u32 v134, v3, v0, 0x0                  // scaleToBpe: accumulate d0 lower and *= bpe into Cin addr
v_cndmask_b32 v134, -1, v134, s[56:57]             // LDD clip if OOB. offset
/* (d1,vc1,d0,vc0)=(3,3,1,0) */
_v_add_co_u32 v4, vcc, v0, 32                      // coord0.1: coord0 += d0*sg0*VW + vc0
v_cmp_lt_u32 s[52:53], v4, s[sgprSizeI]            // coord0 < size0
v_cmp_lt_u32 s[56:57], v1, s[sgprSizeJ]            // coord1 < size1
s_and_b64 s[56:57], s[52:53], s[56:57]             // in0 && in1
_v_add_lshl_u32 v137, v2, v4, 0x0                  // scaleToBpe: accumulate d0 lower and *= bpe into Cin addr
v_cndmask_b32 v137, -1, v137, s[56:57]             // LDC clip if OOB. offset
buffer_load_ubyte v138, v137, s[sgprSrdC:sgprSrdC+3], 0, offen offset:0,  sc0 sc1 // load C for beta calc
_v_add_lshl_u32 v137, v3, v4, 0x0                  // scaleToBpe: accumulate d0 lower and *= bpe into Cin addr
v_cndmask_b32 v137, -1, v137, s[56:57]             // LDD clip if OOB. offset
/* (d1,vc1,d0,vc0)=(3,3,2,0) */
_v_add_co_u32 v4, vcc, v0, 64                      // coord0.1: coord0 += d0*sg0*VW + vc0
v_cmp_lt_u32 s[52:53], v4, s[sgprSizeI]            // coord0 < size0
v_cmp_lt_u32 s[56:57], v1, s[sgprSizeJ]            // coord1 < size1
s_and_b64 s[56:57], s[52:53], s[56:57]             // in0 && in1
_v_add_lshl_u32 v140, v2, v4, 0x0                  // scaleToBpe: accumulate d0 lower and *= bpe into Cin addr
v_cndmask_b32 v140, -1, v140, s[56:57]             // LDC clip if OOB. offset
buffer_load_ubyte v141, v140, s[sgprSrdC:sgprSrdC+3], 0, offen offset:0,  sc0 sc1 // load C for beta calc
_v_add_lshl_u32 v140, v3, v4, 0x0                  // scaleToBpe: accumulate d0 lower and *= bpe into Cin addr
v_cndmask_b32 v140, -1, v140, s[56:57]             // LDD clip if OOB. offset
/* (d1,vc1,d0,vc0)=(3,3,3,0) */
s_mov_b32 s52, 96                                  // coordOffset0 d0=3 vc0=0
_v_add_co_u32 v4, vcc, v0, s52                     // coord0.2: coord0 += d0*sg0*VW + vc0
v_cmp_lt_u32 s[52:53], v4, s[sgprSizeI]            // coord0 < size0
v_cmp_lt_u32 s[56:57], v1, s[sgprSizeJ]            // coord1 < size1
s_and_b64 s[56:57], s[52:53], s[56:57]             // in0 && in1
_v_add_lshl_u32 v143, v2, v4, 0x0                  // scaleToBpe: accumulate d0 lower and *= bpe into Cin addr
v_cndmask_b32 v143, -1, v143, s[56:57]             // LDC clip if OOB. offset
buffer_load_ubyte v144, v143, s[sgprSrdC:sgprSrdC+3], 0, offen offset:0,  sc0 sc1 // load C for beta calc
_v_add_lshl_u32 v143, v3, v4, 0x0                  // scaleToBpe: accumulate d0 lower and *= bpe into Cin addr
v_cndmask_b32 v143, -1, v143, s[56:57]             // LDD clip if OOB. offset
/* (d1,vc1,d0,vc0)=(3,3,4,0) */
s_mov_b32 s52, 128                                 // coordOffset0 d0=4 vc0=0
_v_add_co_u32 v4, vcc, v0, s52                     // coord0.2: coord0 += d0*sg0*VW + vc0
v_cmp_lt_u32 s[52:53], v4, s[sgprSizeI]            // coord0 < size0
v_cmp_lt_u32 s[56:57], v1, s[sgprSizeJ]            // coord1 < size1
s_and_b64 s[56:57], s[52:53], s[56:57]             // in0 && in1
_v_add_lshl_u32 v146, v2, v4, 0x0                  // scaleToBpe: accumulate d0 lower and *= bpe into Cin addr
v_cndmask_b32 v146, -1, v146, s[56:57]             // LDC clip if OOB. offset
buffer_load_ubyte v147, v146, s[sgprSrdC:sgprSrdC+3], 0, offen offset:0,  sc0 sc1 // load C for beta calc
_v_add_lshl_u32 v146, v3, v4, 0x0                  // scaleToBpe: accumulate d0 lower and *= bpe into Cin addr
v_cndmask_b32 v146, -1, v146, s[56:57]             // LDD clip if OOB. offset
/* (d1,vc1,d0,vc0)=(3,3,5,0) */
s_mov_b32 s52, 160                                 // coordOffset0 d0=5 vc0=0
	;; [unrolled: 11-line block ×4, first 2 shown]
_v_add_co_u32 v4, vcc, v0, s52                     // coord0.2: coord0 += d0*sg0*VW + vc0
v_cmp_lt_u32 s[52:53], v4, s[sgprSizeI]            // coord0 < size0
v_cmp_lt_u32 s[56:57], v1, s[sgprSizeJ]            // coord1 < size1
s_and_b64 s[56:57], s[52:53], s[56:57]             // in0 && in1
_v_add_lshl_u32 v155, v2, v4, 0x0                  // scaleToBpe: accumulate d0 lower and *= bpe into Cin addr
v_cndmask_b32 v155, -1, v155, s[56:57]             // LDC clip if OOB. offset
buffer_load_ubyte v156, v155, s[sgprSrdC:sgprSrdC+3], 0, offen offset:0,  sc0 sc1 // load C for beta calc
_v_add_lshl_u32 v155, v3, v4, 0x0                  // scaleToBpe: accumulate d0 lower and *= bpe into Cin addr
v_cndmask_b32 v155, -1, v155, s[56:57]             // LDD clip if OOB. offset
/* (d1,vc1,d0,vc0)=(4,0,0,0) */
s_mov_b32 s52, 101                                 // rowInc d1=0 vc1=0
_v_add_co_u32 v1, vcc, v1, s52                     // coord1.2: coord1 += d1*sg1*VW + vc1

/* Fix for UseInitialStridesCD, emitAddressSetupCode */
s_mul_i32 s52, s[sgprStrideC1J], 101               // scale stride
_v_add_u32 v2, v2, s52                             // ROWINC- Move cinRowPtr to next row
s_mul_i32 s52, s[sgprStrideD1J], 101               // scale stride
_v_add_u32 v3, v3, s52                             // Move coutRowPtr to next row
v_cmp_lt_u32 s[52:53], v0, s[sgprSizeI]            // coord0 < size0
v_cmp_lt_u32 s[56:57], v1, s[sgprSizeJ]            // coord1 < size1
s_and_b64 s[56:57], s[52:53], s[56:57]             // in0 && in1
_v_add_lshl_u32 v158, v2, v0, 0x0                  // scaleToBpe: accumulate d0 lower and *= bpe into Cin addr
v_cndmask_b32 v158, -1, v158, s[56:57]             // LDC clip if OOB. offset
buffer_load_ubyte v159, v158, s[sgprSrdC:sgprSrdC+3], 0, offen offset:0,  sc0 sc1 // load C for beta calc
_v_add_lshl_u32 v158, v3, v0, 0x0                  // scaleToBpe: accumulate d0 lower and *= bpe into Cin addr
v_cndmask_b32 v158, -1, v158, s[56:57]             // LDD clip if OOB. offset
/* (d1,vc1,d0,vc0)=(4,0,1,0) */
_v_add_co_u32 v4, vcc, v0, 32                      // coord0.1: coord0 += d0*sg0*VW + vc0
v_cmp_lt_u32 s[52:53], v4, s[sgprSizeI]            // coord0 < size0
v_cmp_lt_u32 s[56:57], v1, s[sgprSizeJ]            // coord1 < size1
s_and_b64 s[56:57], s[52:53], s[56:57]             // in0 && in1
_v_add_lshl_u32 v161, v2, v4, 0x0                  // scaleToBpe: accumulate d0 lower and *= bpe into Cin addr
v_cndmask_b32 v161, -1, v161, s[56:57]             // LDC clip if OOB. offset
buffer_load_ubyte v162, v161, s[sgprSrdC:sgprSrdC+3], 0, offen offset:0,  sc0 sc1 // load C for beta calc
_v_add_lshl_u32 v161, v3, v4, 0x0                  // scaleToBpe: accumulate d0 lower and *= bpe into Cin addr
v_cndmask_b32 v161, -1, v161, s[56:57]             // LDD clip if OOB. offset
/* (d1,vc1,d0,vc0)=(4,0,2,0) */
_v_add_co_u32 v4, vcc, v0, 64                      // coord0.1: coord0 += d0*sg0*VW + vc0
v_cmp_lt_u32 s[52:53], v4, s[sgprSizeI]            // coord0 < size0
v_cmp_lt_u32 s[56:57], v1, s[sgprSizeJ]            // coord1 < size1
s_and_b64 s[56:57], s[52:53], s[56:57]             // in0 && in1
_v_add_lshl_u32 v164, v2, v4, 0x0                  // scaleToBpe: accumulate d0 lower and *= bpe into Cin addr
v_cndmask_b32 v164, -1, v164, s[56:57]             // LDC clip if OOB. offset
buffer_load_ubyte v165, v164, s[sgprSrdC:sgprSrdC+3], 0, offen offset:0,  sc0 sc1 // load C for beta calc
_v_add_lshl_u32 v164, v3, v4, 0x0                  // scaleToBpe: accumulate d0 lower and *= bpe into Cin addr
v_cndmask_b32 v164, -1, v164, s[56:57]             // LDD clip if OOB. offset
/* (d1,vc1,d0,vc0)=(4,0,3,0) */
s_mov_b32 s52, 96                                  // coordOffset0 d0=3 vc0=0
_v_add_co_u32 v4, vcc, v0, s52                     // coord0.2: coord0 += d0*sg0*VW + vc0
v_cmp_lt_u32 s[52:53], v4, s[sgprSizeI]            // coord0 < size0
v_cmp_lt_u32 s[56:57], v1, s[sgprSizeJ]            // coord1 < size1
s_and_b64 s[56:57], s[52:53], s[56:57]             // in0 && in1
_v_add_lshl_u32 v167, v2, v4, 0x0                  // scaleToBpe: accumulate d0 lower and *= bpe into Cin addr
v_cndmask_b32 v167, -1, v167, s[56:57]             // LDC clip if OOB. offset
buffer_load_ubyte v168, v167, s[sgprSrdC:sgprSrdC+3], 0, offen offset:0,  sc0 sc1 // load C for beta calc
_v_add_lshl_u32 v167, v3, v4, 0x0                  // scaleToBpe: accumulate d0 lower and *= bpe into Cin addr
v_cndmask_b32 v167, -1, v167, s[56:57]             // LDD clip if OOB. offset
/* (d1,vc1,d0,vc0)=(4,0,4,0) */
s_mov_b32 s52, 128                                 // coordOffset0 d0=4 vc0=0
_v_add_co_u32 v4, vcc, v0, s52                     // coord0.2: coord0 += d0*sg0*VW + vc0
v_cmp_lt_u32 s[52:53], v4, s[sgprSizeI]            // coord0 < size0
v_cmp_lt_u32 s[56:57], v1, s[sgprSizeJ]            // coord1 < size1
s_and_b64 s[56:57], s[52:53], s[56:57]             // in0 && in1
_v_add_lshl_u32 v170, v2, v4, 0x0                  // scaleToBpe: accumulate d0 lower and *= bpe into Cin addr
v_cndmask_b32 v170, -1, v170, s[56:57]             // LDC clip if OOB. offset
buffer_load_ubyte v171, v170, s[sgprSrdC:sgprSrdC+3], 0, offen offset:0,  sc0 sc1 // load C for beta calc
_v_add_lshl_u32 v170, v3, v4, 0x0                  // scaleToBpe: accumulate d0 lower and *= bpe into Cin addr
v_cndmask_b32 v170, -1, v170, s[56:57]             // LDD clip if OOB. offset
/* (d1,vc1,d0,vc0)=(4,0,5,0) */
s_mov_b32 s52, 160                                 // coordOffset0 d0=5 vc0=0
_v_add_co_u32 v4, vcc, v0, s52                     // coord0.2: coord0 += d0*sg0*VW + vc0
v_cmp_lt_u32 s[52:53], v4, s[sgprSizeI]            // coord0 < size0
v_cmp_lt_u32 s[56:57], v1, s[sgprSizeJ]            // coord1 < size1
s_and_b64 s[56:57], s[52:53], s[56:57]             // in0 && in1
_v_add_lshl_u32 v173, v2, v4, 0x0                  // scaleToBpe: accumulate d0 lower and *= bpe into Cin addr
v_cndmask_b32 v173, -1, v173, s[56:57]             // LDC clip if OOB. offset
buffer_load_ubyte v174, v173, s[sgprSrdC:sgprSrdC+3], 0, offen offset:0,  sc0 sc1 // load C for beta calc
_v_add_lshl_u32 v173, v3, v4, 0x0                  // scaleToBpe: accumulate d0 lower and *= bpe into Cin addr
v_cndmask_b32 v173, -1, v173, s[56:57]             // LDD clip if OOB. offset
/* (d1,vc1,d0,vc0)=(4,0,6,0) */
s_mov_b32 s52, 192                                 // coordOffset0 d0=6 vc0=0
_v_add_co_u32 v4, vcc, v0, s52                     // coord0.2: coord0 += d0*sg0*VW + vc0
v_cmp_lt_u32 s[52:53], v4, s[sgprSizeI]            // coord0 < size0
v_cmp_lt_u32 s[56:57], v1, s[sgprSizeJ]            // coord1 < size1
s_and_b64 s[56:57], s[52:53], s[56:57]             // in0 && in1
_v_add_lshl_u32 v176, v2, v4, 0x0                  // scaleToBpe: accumulate d0 lower and *= bpe into Cin addr
v_cndmask_b32 v176, -1, v176, s[56:57]             // LDC clip if OOB. offset
buffer_load_ubyte v177, v176, s[sgprSrdC:sgprSrdC+3], 0, offen offset:0,  sc0 sc1 // load C for beta calc
_v_add_lshl_u32 v176, v3, v4, 0x0                  // scaleToBpe: accumulate d0 lower and *= bpe into Cin addr
v_cndmask_b32 v176, -1, v176, s[56:57]             // LDD clip if OOB. offset
/* (d1,vc1,d0,vc0)=(4,0,7,0) */
s_mov_b32 s52, 224                                 // coordOffset0 d0=7 vc0=0
_v_add_co_u32 v4, vcc, v0, s52                     // coord0.2: coord0 += d0*sg0*VW + vc0
v_cmp_lt_u32 s[52:53], v4, s[sgprSizeI]            // coord0 < size0
v_cmp_lt_u32 s[56:57], v1, s[sgprSizeJ]            // coord1 < size1
s_and_b64 s[56:57], s[52:53], s[56:57]             // in0 && in1
_v_add_lshl_u32 v179, v2, v4, 0x0                  // scaleToBpe: accumulate d0 lower and *= bpe into Cin addr
v_cndmask_b32 v179, -1, v179, s[56:57]             // LDC clip if OOB. offset
buffer_load_ubyte v180, v179, s[sgprSrdC:sgprSrdC+3], 0, offen offset:0,  sc0 sc1 // load C for beta calc
_v_add_lshl_u32 v179, v3, v4, 0x0                  // scaleToBpe: accumulate d0 lower and *= bpe into Cin addr
v_cndmask_b32 v179, -1, v179, s[56:57]             // LDD clip if OOB. offset
/* (d1,vc1,d0,vc0)=(4,1,0,0) */
_v_add_co_u32 v1, vcc, v1, 1                       // coord1.1: coord1Vgpr += d1*sg1*VW + vc1

/* Fix for UseInitialStridesCD, emitAddressSetupCode */
_v_add_u32 v2, v2, s[sgprStrideC1J]                // ROWINC- Move cinRowPtr to next row
_v_add_u32 v3, v3, s[sgprStrideD1J]                // Move coutRowPtr to next row
v_cmp_lt_u32 s[52:53], v0, s[sgprSizeI]            // coord0 < size0
v_cmp_lt_u32 s[56:57], v1, s[sgprSizeJ]            // coord1 < size1
s_and_b64 s[56:57], s[52:53], s[56:57]             // in0 && in1
_v_add_lshl_u32 v182, v2, v0, 0x0                  // scaleToBpe: accumulate d0 lower and *= bpe into Cin addr
v_cndmask_b32 v182, -1, v182, s[56:57]             // LDC clip if OOB. offset
buffer_load_ubyte v183, v182, s[sgprSrdC:sgprSrdC+3], 0, offen offset:0,  sc0 sc1 // load C for beta calc
_v_add_lshl_u32 v182, v3, v0, 0x0                  // scaleToBpe: accumulate d0 lower and *= bpe into Cin addr
v_cndmask_b32 v182, -1, v182, s[56:57]             // LDD clip if OOB. offset
/* (d1,vc1,d0,vc0)=(4,1,1,0) */
_v_add_co_u32 v4, vcc, v0, 32                      // coord0.1: coord0 += d0*sg0*VW + vc0
v_cmp_lt_u32 s[52:53], v4, s[sgprSizeI]            // coord0 < size0
v_cmp_lt_u32 s[56:57], v1, s[sgprSizeJ]            // coord1 < size1
s_and_b64 s[56:57], s[52:53], s[56:57]             // in0 && in1
_v_add_lshl_u32 v185, v2, v4, 0x0                  // scaleToBpe: accumulate d0 lower and *= bpe into Cin addr
v_cndmask_b32 v185, -1, v185, s[56:57]             // LDC clip if OOB. offset
buffer_load_ubyte v186, v185, s[sgprSrdC:sgprSrdC+3], 0, offen offset:0,  sc0 sc1 // load C for beta calc
_v_add_lshl_u32 v185, v3, v4, 0x0                  // scaleToBpe: accumulate d0 lower and *= bpe into Cin addr
v_cndmask_b32 v185, -1, v185, s[56:57]             // LDD clip if OOB. offset
/* (d1,vc1,d0,vc0)=(4,1,2,0) */
_v_add_co_u32 v4, vcc, v0, 64                      // coord0.1: coord0 += d0*sg0*VW + vc0
v_cmp_lt_u32 s[52:53], v4, s[sgprSizeI]            // coord0 < size0
v_cmp_lt_u32 s[56:57], v1, s[sgprSizeJ]            // coord1 < size1
s_and_b64 s[56:57], s[52:53], s[56:57]             // in0 && in1
_v_add_lshl_u32 v188, v2, v4, 0x0                  // scaleToBpe: accumulate d0 lower and *= bpe into Cin addr
v_cndmask_b32 v188, -1, v188, s[56:57]             // LDC clip if OOB. offset
buffer_load_ubyte v189, v188, s[sgprSrdC:sgprSrdC+3], 0, offen offset:0,  sc0 sc1 // load C for beta calc
_v_add_lshl_u32 v188, v3, v4, 0x0                  // scaleToBpe: accumulate d0 lower and *= bpe into Cin addr
v_cndmask_b32 v188, -1, v188, s[56:57]             // LDD clip if OOB. offset
/* (d1,vc1,d0,vc0)=(4,1,3,0) */
s_mov_b32 s52, 96                                  // coordOffset0 d0=3 vc0=0
_v_add_co_u32 v4, vcc, v0, s52                     // coord0.2: coord0 += d0*sg0*VW + vc0
v_cmp_lt_u32 s[52:53], v4, s[sgprSizeI]            // coord0 < size0
v_cmp_lt_u32 s[56:57], v1, s[sgprSizeJ]            // coord1 < size1
s_and_b64 s[56:57], s[52:53], s[56:57]             // in0 && in1
_v_add_lshl_u32 v191, v2, v4, 0x0                  // scaleToBpe: accumulate d0 lower and *= bpe into Cin addr
v_cndmask_b32 v191, -1, v191, s[56:57]             // LDC clip if OOB. offset
buffer_load_ubyte v192, v191, s[sgprSrdC:sgprSrdC+3], 0, offen offset:0,  sc0 sc1 // load C for beta calc
_v_add_lshl_u32 v191, v3, v4, 0x0                  // scaleToBpe: accumulate d0 lower and *= bpe into Cin addr
v_cndmask_b32 v191, -1, v191, s[56:57]             // LDD clip if OOB. offset
/* (d1,vc1,d0,vc0)=(4,1,4,0) */
s_mov_b32 s52, 128                                 // coordOffset0 d0=4 vc0=0
_v_add_co_u32 v4, vcc, v0, s52                     // coord0.2: coord0 += d0*sg0*VW + vc0
v_cmp_lt_u32 s[52:53], v4, s[sgprSizeI]            // coord0 < size0
v_cmp_lt_u32 s[56:57], v1, s[sgprSizeJ]            // coord1 < size1
s_and_b64 s[56:57], s[52:53], s[56:57]             // in0 && in1
_v_add_lshl_u32 v194, v2, v4, 0x0                  // scaleToBpe: accumulate d0 lower and *= bpe into Cin addr
v_cndmask_b32 v194, -1, v194, s[56:57]             // LDC clip if OOB. offset
buffer_load_ubyte v195, v194, s[sgprSrdC:sgprSrdC+3], 0, offen offset:0,  sc0 sc1 // load C for beta calc
_v_add_lshl_u32 v194, v3, v4, 0x0                  // scaleToBpe: accumulate d0 lower and *= bpe into Cin addr
v_cndmask_b32 v194, -1, v194, s[56:57]             // LDD clip if OOB. offset
/* (d1,vc1,d0,vc0)=(4,1,5,0) */
s_mov_b32 s52, 160                                 // coordOffset0 d0=5 vc0=0
	;; [unrolled: 11-line block ×4, first 2 shown]
_v_add_co_u32 v4, vcc, v0, s52                     // coord0.2: coord0 += d0*sg0*VW + vc0
v_cmp_lt_u32 s[52:53], v4, s[sgprSizeI]            // coord0 < size0
v_cmp_lt_u32 s[56:57], v1, s[sgprSizeJ]            // coord1 < size1
s_and_b64 s[56:57], s[52:53], s[56:57]             // in0 && in1
_v_add_lshl_u32 v203, v2, v4, 0x0                  // scaleToBpe: accumulate d0 lower and *= bpe into Cin addr
v_cndmask_b32 v203, -1, v203, s[56:57]             // LDC clip if OOB. offset
buffer_load_ubyte v204, v203, s[sgprSrdC:sgprSrdC+3], 0, offen offset:0,  sc0 sc1 // load C for beta calc
_v_add_lshl_u32 v203, v3, v4, 0x0                  // scaleToBpe: accumulate d0 lower and *= bpe into Cin addr
v_cndmask_b32 v203, -1, v203, s[56:57]             // LDD clip if OOB. offset
/* (d1,vc1,d0,vc0)=(4,2,0,0) */
_v_add_co_u32 v1, vcc, v1, 1                       // coord1.1: coord1Vgpr += d1*sg1*VW + vc1

/* Fix for UseInitialStridesCD, emitAddressSetupCode */
_v_add_u32 v2, v2, s[sgprStrideC1J]                // ROWINC- Move cinRowPtr to next row
_v_add_u32 v3, v3, s[sgprStrideD1J]                // Move coutRowPtr to next row
v_cmp_lt_u32 s[52:53], v0, s[sgprSizeI]            // coord0 < size0
v_cmp_lt_u32 s[56:57], v1, s[sgprSizeJ]            // coord1 < size1
s_and_b64 s[56:57], s[52:53], s[56:57]             // in0 && in1
_v_add_lshl_u32 v206, v2, v0, 0x0                  // scaleToBpe: accumulate d0 lower and *= bpe into Cin addr
v_cndmask_b32 v206, -1, v206, s[56:57]             // LDC clip if OOB. offset
buffer_load_ubyte v207, v206, s[sgprSrdC:sgprSrdC+3], 0, offen offset:0,  sc0 sc1 // load C for beta calc
_v_add_lshl_u32 v206, v3, v0, 0x0                  // scaleToBpe: accumulate d0 lower and *= bpe into Cin addr
v_cndmask_b32 v206, -1, v206, s[56:57]             // LDD clip if OOB. offset
/* (d1,vc1,d0,vc0)=(4,2,1,0) */
_v_add_co_u32 v4, vcc, v0, 32                      // coord0.1: coord0 += d0*sg0*VW + vc0
v_cmp_lt_u32 s[52:53], v4, s[sgprSizeI]            // coord0 < size0
v_cmp_lt_u32 s[56:57], v1, s[sgprSizeJ]            // coord1 < size1
s_and_b64 s[56:57], s[52:53], s[56:57]             // in0 && in1
_v_add_lshl_u32 v209, v2, v4, 0x0                  // scaleToBpe: accumulate d0 lower and *= bpe into Cin addr
v_cndmask_b32 v209, -1, v209, s[56:57]             // LDC clip if OOB. offset
buffer_load_ubyte v210, v209, s[sgprSrdC:sgprSrdC+3], 0, offen offset:0,  sc0 sc1 // load C for beta calc
_v_add_lshl_u32 v209, v3, v4, 0x0                  // scaleToBpe: accumulate d0 lower and *= bpe into Cin addr
v_cndmask_b32 v209, -1, v209, s[56:57]             // LDD clip if OOB. offset
/* (d1,vc1,d0,vc0)=(4,2,2,0) */
_v_add_co_u32 v4, vcc, v0, 64                      // coord0.1: coord0 += d0*sg0*VW + vc0
v_cmp_lt_u32 s[52:53], v4, s[sgprSizeI]            // coord0 < size0
v_cmp_lt_u32 s[56:57], v1, s[sgprSizeJ]            // coord1 < size1
s_and_b64 s[56:57], s[52:53], s[56:57]             // in0 && in1
_v_add_lshl_u32 v212, v2, v4, 0x0                  // scaleToBpe: accumulate d0 lower and *= bpe into Cin addr
v_cndmask_b32 v212, -1, v212, s[56:57]             // LDC clip if OOB. offset
buffer_load_ubyte v213, v212, s[sgprSrdC:sgprSrdC+3], 0, offen offset:0,  sc0 sc1 // load C for beta calc
_v_add_lshl_u32 v212, v3, v4, 0x0                  // scaleToBpe: accumulate d0 lower and *= bpe into Cin addr
v_cndmask_b32 v212, -1, v212, s[56:57]             // LDD clip if OOB. offset
/* (d1,vc1,d0,vc0)=(4,2,3,0) */
s_mov_b32 s52, 96                                  // coordOffset0 d0=3 vc0=0
_v_add_co_u32 v4, vcc, v0, s52                     // coord0.2: coord0 += d0*sg0*VW + vc0
v_cmp_lt_u32 s[52:53], v4, s[sgprSizeI]            // coord0 < size0
v_cmp_lt_u32 s[56:57], v1, s[sgprSizeJ]            // coord1 < size1
s_and_b64 s[56:57], s[52:53], s[56:57]             // in0 && in1
_v_add_lshl_u32 v215, v2, v4, 0x0                  // scaleToBpe: accumulate d0 lower and *= bpe into Cin addr
v_cndmask_b32 v215, -1, v215, s[56:57]             // LDC clip if OOB. offset
buffer_load_ubyte v216, v215, s[sgprSrdC:sgprSrdC+3], 0, offen offset:0,  sc0 sc1 // load C for beta calc
_v_add_lshl_u32 v215, v3, v4, 0x0                  // scaleToBpe: accumulate d0 lower and *= bpe into Cin addr
v_cndmask_b32 v215, -1, v215, s[56:57]             // LDD clip if OOB. offset
/* (d1,vc1,d0,vc0)=(4,2,4,0) */
s_mov_b32 s52, 128                                 // coordOffset0 d0=4 vc0=0
_v_add_co_u32 v4, vcc, v0, s52                     // coord0.2: coord0 += d0*sg0*VW + vc0
v_cmp_lt_u32 s[52:53], v4, s[sgprSizeI]            // coord0 < size0
v_cmp_lt_u32 s[56:57], v1, s[sgprSizeJ]            // coord1 < size1
s_and_b64 s[56:57], s[52:53], s[56:57]             // in0 && in1
_v_add_lshl_u32 v218, v2, v4, 0x0                  // scaleToBpe: accumulate d0 lower and *= bpe into Cin addr
v_cndmask_b32 v218, -1, v218, s[56:57]             // LDC clip if OOB. offset
buffer_load_ubyte v219, v218, s[sgprSrdC:sgprSrdC+3], 0, offen offset:0,  sc0 sc1 // load C for beta calc
_v_add_lshl_u32 v218, v3, v4, 0x0                  // scaleToBpe: accumulate d0 lower and *= bpe into Cin addr
v_cndmask_b32 v218, -1, v218, s[56:57]             // LDD clip if OOB. offset
/* (d1,vc1,d0,vc0)=(4,2,5,0) */
s_mov_b32 s52, 160                                 // coordOffset0 d0=5 vc0=0
	;; [unrolled: 11-line block ×4, first 2 shown]
_v_add_co_u32 v4, vcc, v0, s52                     // coord0.2: coord0 += d0*sg0*VW + vc0
v_cmp_lt_u32 s[52:53], v4, s[sgprSizeI]            // coord0 < size0
v_cmp_lt_u32 s[56:57], v1, s[sgprSizeJ]            // coord1 < size1
s_and_b64 s[56:57], s[52:53], s[56:57]             // in0 && in1
_v_add_lshl_u32 v227, v2, v4, 0x0                  // scaleToBpe: accumulate d0 lower and *= bpe into Cin addr
v_cndmask_b32 v227, -1, v227, s[56:57]             // LDC clip if OOB. offset
buffer_load_ubyte v228, v227, s[sgprSrdC:sgprSrdC+3], 0, offen offset:0,  sc0 sc1 // load C for beta calc
_v_add_lshl_u32 v227, v3, v4, 0x0                  // scaleToBpe: accumulate d0 lower and *= bpe into Cin addr
v_cndmask_b32 v227, -1, v227, s[56:57]             // LDD clip if OOB. offset
/* (d1,vc1,d0,vc0)=(4,3,0,0) */
_v_add_co_u32 v1, vcc, v1, 1                       // coord1.1: coord1Vgpr += d1*sg1*VW + vc1

/* Fix for UseInitialStridesCD, emitAddressSetupCode */
_v_add_u32 v2, v2, s[sgprStrideC1J]                // ROWINC- Move cinRowPtr to next row
_v_add_u32 v3, v3, s[sgprStrideD1J]                // Move coutRowPtr to next row
v_cmp_lt_u32 s[52:53], v0, s[sgprSizeI]            // coord0 < size0
v_cmp_lt_u32 s[56:57], v1, s[sgprSizeJ]            // coord1 < size1
s_and_b64 s[56:57], s[52:53], s[56:57]             // in0 && in1
_v_add_lshl_u32 v230, v2, v0, 0x0                  // scaleToBpe: accumulate d0 lower and *= bpe into Cin addr
v_cndmask_b32 v230, -1, v230, s[56:57]             // LDC clip if OOB. offset
buffer_load_ubyte v231, v230, s[sgprSrdC:sgprSrdC+3], 0, offen offset:0,  sc0 sc1 // load C for beta calc
_v_add_lshl_u32 v230, v3, v0, 0x0                  // scaleToBpe: accumulate d0 lower and *= bpe into Cin addr
v_cndmask_b32 v230, -1, v230, s[56:57]             // LDD clip if OOB. offset
/* (d1,vc1,d0,vc0)=(4,3,1,0) */
_v_add_co_u32 v4, vcc, v0, 32                      // coord0.1: coord0 += d0*sg0*VW + vc0
v_cmp_lt_u32 s[52:53], v4, s[sgprSizeI]            // coord0 < size0
v_cmp_lt_u32 s[56:57], v1, s[sgprSizeJ]            // coord1 < size1
s_and_b64 s[56:57], s[52:53], s[56:57]             // in0 && in1
_v_add_lshl_u32 v233, v2, v4, 0x0                  // scaleToBpe: accumulate d0 lower and *= bpe into Cin addr
v_cndmask_b32 v233, -1, v233, s[56:57]             // LDC clip if OOB. offset
buffer_load_ubyte v234, v233, s[sgprSrdC:sgprSrdC+3], 0, offen offset:0,  sc0 sc1 // load C for beta calc
_v_add_lshl_u32 v233, v3, v4, 0x0                  // scaleToBpe: accumulate d0 lower and *= bpe into Cin addr
v_cndmask_b32 v233, -1, v233, s[56:57]             // LDD clip if OOB. offset
/* (d1,vc1,d0,vc0)=(4,3,2,0) */
_v_add_co_u32 v4, vcc, v0, 64                      // coord0.1: coord0 += d0*sg0*VW + vc0
v_cmp_lt_u32 s[52:53], v4, s[sgprSizeI]            // coord0 < size0
v_cmp_lt_u32 s[56:57], v1, s[sgprSizeJ]            // coord1 < size1
s_and_b64 s[56:57], s[52:53], s[56:57]             // in0 && in1
_v_add_lshl_u32 v236, v2, v4, 0x0                  // scaleToBpe: accumulate d0 lower and *= bpe into Cin addr
v_cndmask_b32 v236, -1, v236, s[56:57]             // LDC clip if OOB. offset
buffer_load_ubyte v237, v236, s[sgprSrdC:sgprSrdC+3], 0, offen offset:0,  sc0 sc1 // load C for beta calc
_v_add_lshl_u32 v236, v3, v4, 0x0                  // scaleToBpe: accumulate d0 lower and *= bpe into Cin addr
v_cndmask_b32 v236, -1, v236, s[56:57]             // LDD clip if OOB. offset
/* (d1,vc1,d0,vc0)=(4,3,3,0) */
s_mov_b32 s52, 96                                  // coordOffset0 d0=3 vc0=0
_v_add_co_u32 v4, vcc, v0, s52                     // coord0.2: coord0 += d0*sg0*VW + vc0
v_cmp_lt_u32 s[52:53], v4, s[sgprSizeI]            // coord0 < size0
v_cmp_lt_u32 s[56:57], v1, s[sgprSizeJ]            // coord1 < size1
s_and_b64 s[56:57], s[52:53], s[56:57]             // in0 && in1
_v_add_lshl_u32 v239, v2, v4, 0x0                  // scaleToBpe: accumulate d0 lower and *= bpe into Cin addr
v_cndmask_b32 v239, -1, v239, s[56:57]             // LDC clip if OOB. offset
buffer_load_ubyte v240, v239, s[sgprSrdC:sgprSrdC+3], 0, offen offset:0,  sc0 sc1 // load C for beta calc
_v_add_lshl_u32 v239, v3, v4, 0x0                  // scaleToBpe: accumulate d0 lower and *= bpe into Cin addr
v_cndmask_b32 v239, -1, v239, s[56:57]             // LDD clip if OOB. offset
/* (d1,vc1,d0,vc0)=(4,3,4,0) */
s_mov_b32 s52, 128                                 // coordOffset0 d0=4 vc0=0
_v_add_co_u32 v4, vcc, v0, s52                     // coord0.2: coord0 += d0*sg0*VW + vc0
v_cmp_lt_u32 s[52:53], v4, s[sgprSizeI]            // coord0 < size0
v_cmp_lt_u32 s[56:57], v1, s[sgprSizeJ]            // coord1 < size1
s_and_b64 s[56:57], s[52:53], s[56:57]             // in0 && in1
_v_add_lshl_u32 v242, v2, v4, 0x0                  // scaleToBpe: accumulate d0 lower and *= bpe into Cin addr
v_cndmask_b32 v242, -1, v242, s[56:57]             // LDC clip if OOB. offset
buffer_load_ubyte v243, v242, s[sgprSrdC:sgprSrdC+3], 0, offen offset:0,  sc0 sc1 // load C for beta calc
_v_add_lshl_u32 v242, v3, v4, 0x0                  // scaleToBpe: accumulate d0 lower and *= bpe into Cin addr
v_cndmask_b32 v242, -1, v242, s[56:57]             // LDD clip if OOB. offset
/* (d1,vc1,d0,vc0)=(4,3,5,0) */
s_mov_b32 s52, 160                                 // coordOffset0 d0=5 vc0=0
_v_add_co_u32 v4, vcc, v0, s52                     // coord0.2: coord0 += d0*sg0*VW + vc0
v_cmp_lt_u32 s[52:53], v4, s[sgprSizeI]            // coord0 < size0
v_cmp_lt_u32 s[56:57], v1, s[sgprSizeJ]            // coord1 < size1
s_and_b64 s[56:57], s[52:53], s[56:57]             // in0 && in1
_v_add_lshl_u32 v245, v2, v4, 0x0                  // scaleToBpe: accumulate d0 lower and *= bpe into Cin addr
v_cndmask_b32 v245, -1, v245, s[56:57]             // LDC clip if OOB. offset
buffer_load_ubyte v246, v245, s[sgprSrdC:sgprSrdC+3], 0, offen offset:0,  sc0 sc1 // load C for beta calc
_v_add_lshl_u32 v245, v3, v4, 0x0                  // scaleToBpe: accumulate d0 lower and *= bpe into Cin addr
v_cndmask_b32 v245, -1, v245, s[56:57]             // LDD clip if OOB. offset
/* (d1,vc1,d0,vc0)=(4,3,6,0) */
s_mov_b32 s52, 192                                 // coordOffset0 d0=6 vc0=0
_v_add_co_u32 v4, vcc, v0, s52                     // coord0.2: coord0 += d0*sg0*VW + vc0
v_cmp_lt_u32 s[52:53], v4, s[sgprSizeI]            // coord0 < size0
v_cmp_lt_u32 s[56:57], v1, s[sgprSizeJ]            // coord1 < size1
s_and_b64 s[56:57], s[52:53], s[56:57]             // in0 && in1
_v_add_lshl_u32 v248, v2, v4, 0x0                  // scaleToBpe: accumulate d0 lower and *= bpe into Cin addr
v_cndmask_b32 v248, -1, v248, s[56:57]             // LDC clip if OOB. offset
buffer_load_ubyte v249, v248, s[sgprSrdC:sgprSrdC+3], 0, offen offset:0,  sc0 sc1 // load C for beta calc
_v_add_lshl_u32 v248, v3, v4, 0x0                  // scaleToBpe: accumulate d0 lower and *= bpe into Cin addr
v_cndmask_b32 v248, -1, v248, s[56:57]             // LDD clip if OOB. offset
/* (d1,vc1,d0,vc0)=(4,3,7,0) */
s_mov_b32 s52, 224                                 // coordOffset0 d0=7 vc0=0
_v_add_co_u32 v4, vcc, v0, s52                     // coord0.2: coord0 += d0*sg0*VW + vc0
v_cmp_lt_u32 s[52:53], v4, s[sgprSizeI]            // coord0 < size0
v_cmp_lt_u32 s[56:57], v1, s[sgprSizeJ]            // coord1 < size1
s_and_b64 s[56:57], s[52:53], s[56:57]             // in0 && in1
_v_add_lshl_u32 v251, v2, v4, 0x0                  // scaleToBpe: accumulate d0 lower and *= bpe into Cin addr
v_cndmask_b32 v251, -1, v251, s[56:57]             // LDC clip if OOB. offset
buffer_load_ubyte v252, v251, s[sgprSrdC:sgprSrdC+3], 0, offen offset:0,  sc0 sc1 // load C for beta calc
_v_add_lshl_u32 v251, v3, v4, 0x0                  // scaleToBpe: accumulate d0 lower and *= bpe into Cin addr
v_cndmask_b32 v251, -1, v251, s[56:57]             // LDD clip if OOB. offset
s_sleep 3 // optimization: sync and wait
s_barrier
v_accvgpr_read_b32 v[vgprValuC+13], acc10 // copy acc to vreg[80]
v_accvgpr_read_b32 v[vgprValuC+16], acc26 // copy acc to vreg[81]
v_accvgpr_read_b32 v[vgprValuC+19], acc42 // copy acc to vreg[82]
v_accvgpr_read_b32 v[vgprValuC+22], acc58 // copy acc to vreg[83]
v_accvgpr_read_b32 v[vgprValuC+25], acc74 // copy acc to vreg[84]
v_accvgpr_read_b32 v[vgprValuC+28], acc90 // copy acc to vreg[85]
v_accvgpr_read_b32 v[vgprValuC+31], acc106 // copy acc to vreg[86]
v_accvgpr_read_b32 v[vgprValuC+34], acc122 // copy acc to vreg[87]
v_accvgpr_read_b32 v[vgprValuC+37], acc11 // copy acc to vreg[88]
v_accvgpr_read_b32 v[vgprValuC+40], acc27 // copy acc to vreg[89]
v_accvgpr_read_b32 v[vgprValuC+43], acc43 // copy acc to vreg[90]
v_accvgpr_read_b32 v[vgprValuC+46], acc59 // copy acc to vreg[91]
v_accvgpr_read_b32 v[vgprValuC+49], acc75 // copy acc to vreg[92]
v_accvgpr_read_b32 v[vgprValuC+52], acc91 // copy acc to vreg[93]
v_accvgpr_read_b32 v[vgprValuC+55], acc107 // copy acc to vreg[94]
v_accvgpr_read_b32 v[vgprValuC+58], acc123 // copy acc to vreg[95]
v_accvgpr_read_b32 v[vgprValuC+61], acc12 // copy acc to vreg[96]
v_accvgpr_read_b32 v[vgprValuC+64], acc28 // copy acc to vreg[97]
v_accvgpr_read_b32 v[vgprValuC+67], acc44 // copy acc to vreg[98]
v_accvgpr_read_b32 v[vgprValuC+70], acc60 // copy acc to vreg[99]
v_accvgpr_read_b32 v[vgprValuC+73], acc76 // copy acc to vreg[100]
v_accvgpr_read_b32 v[vgprValuC+76], acc92 // copy acc to vreg[101]
v_accvgpr_read_b32 v[vgprValuC+79], acc108 // copy acc to vreg[102]
v_accvgpr_read_b32 v[vgprValuC+82], acc124 // copy acc to vreg[103]
v_accvgpr_read_b32 v[vgprValuC+85], acc13 // copy acc to vreg[104]
v_accvgpr_read_b32 v[vgprValuC+88], acc29 // copy acc to vreg[105]
v_accvgpr_read_b32 v[vgprValuC+91], acc45 // copy acc to vreg[106]
v_accvgpr_read_b32 v[vgprValuC+94], acc61 // copy acc to vreg[107]
v_accvgpr_read_b32 v[vgprValuC+97], acc77 // copy acc to vreg[108]
v_accvgpr_read_b32 v[vgprValuC+100], acc93 // copy acc to vreg[109]
v_accvgpr_read_b32 v[vgprValuC+103], acc109 // copy acc to vreg[110]
v_accvgpr_read_b32 v[vgprValuC+106], acc125 // copy acc to vreg[111]
v_accvgpr_read_b32 v[vgprValuC+109], acc14 // copy acc to vreg[112]
v_accvgpr_read_b32 v[vgprValuC+112], acc30 // copy acc to vreg[113]
v_accvgpr_read_b32 v[vgprValuC+115], acc46 // copy acc to vreg[114]
v_accvgpr_read_b32 v[vgprValuC+121], acc62 // copy acc to vreg[115]
v_accvgpr_read_b32 v[vgprValuC+124], acc78 // copy acc to vreg[116]
v_accvgpr_read_b32 v[vgprValuC+127], acc94 // copy acc to vreg[117]
v_accvgpr_read_b32 v[vgprValuC+130], acc110 // copy acc to vreg[118]
v_accvgpr_read_b32 v[vgprValuC+133], acc126 // copy acc to vreg[119]
v_accvgpr_read_b32 v[vgprValuC+136], acc15 // copy acc to vreg[120]
v_accvgpr_read_b32 v[vgprValuC+139], acc31 // copy acc to vreg[121]
v_accvgpr_read_b32 v[vgprValuC+142], acc47 // copy acc to vreg[122]
v_accvgpr_read_b32 v[vgprValuC+145], acc63 // copy acc to vreg[123]
v_accvgpr_read_b32 v[vgprValuC+148], acc79 // copy acc to vreg[124]
v_accvgpr_read_b32 v[vgprValuC+151], acc95 // copy acc to vreg[125]
v_accvgpr_read_b32 v[vgprValuC+154], acc111 // copy acc to vreg[126]
v_accvgpr_read_b32 v[vgprValuC+157], acc127 // copy acc to vreg[127]
v_accvgpr_read_b32 v[vgprValuC+160], acc128 // copy acc to vreg[128]
v_accvgpr_read_b32 v[vgprValuC+163], acc144 // copy acc to vreg[129]
v_accvgpr_read_b32 v[vgprValuC+166], acc160 // copy acc to vreg[130]
v_accvgpr_read_b32 v[vgprValuC+169], acc176 // copy acc to vreg[131]
v_accvgpr_read_b32 v[vgprValuC+172], acc192 // copy acc to vreg[132]
v_accvgpr_read_b32 v[vgprValuC+175], acc208 // copy acc to vreg[133]
v_accvgpr_read_b32 v[vgprValuC+178], acc224 // copy acc to vreg[134]
v_accvgpr_read_b32 v[vgprValuC+181], acc240 // copy acc to vreg[135]
v_accvgpr_read_b32 v[vgprValuC+184], acc129 // copy acc to vreg[136]
v_accvgpr_read_b32 v[vgprValuC+187], acc145 // copy acc to vreg[137]
v_accvgpr_read_b32 v[vgprValuC+190], acc161 // copy acc to vreg[138]
v_accvgpr_read_b32 v[vgprValuC+193], acc177 // copy acc to vreg[139]
v_accvgpr_read_b32 v[vgprValuC+196], acc193 // copy acc to vreg[140]
v_accvgpr_read_b32 v[vgprValuC+199], acc209 // copy acc to vreg[141]
v_accvgpr_read_b32 v[vgprValuC+202], acc225 // copy acc to vreg[142]
v_accvgpr_read_b32 v[vgprValuC+205], acc241 // copy acc to vreg[143]
v_accvgpr_read_b32 v[vgprValuC+208], acc130 // copy acc to vreg[144]
v_accvgpr_read_b32 v[vgprValuC+211], acc146 // copy acc to vreg[145]
v_accvgpr_read_b32 v[vgprValuC+214], acc162 // copy acc to vreg[146]
v_accvgpr_read_b32 v[vgprValuC+217], acc178 // copy acc to vreg[147]
v_accvgpr_read_b32 v[vgprValuC+220], acc194 // copy acc to vreg[148]
v_accvgpr_read_b32 v[vgprValuC+223], acc210 // copy acc to vreg[149]
v_accvgpr_read_b32 v[vgprValuC+226], acc226 // copy acc to vreg[150]
v_accvgpr_read_b32 v[vgprValuC+229], acc242 // copy acc to vreg[151]
v_accvgpr_read_b32 v[vgprValuC+232], acc131 // copy acc to vreg[152]
v_accvgpr_read_b32 v[vgprValuC+235], acc147 // copy acc to vreg[153]
v_accvgpr_read_b32 v[vgprValuC+238], acc163 // copy acc to vreg[154]
v_accvgpr_read_b32 v[vgprValuC+241], acc179 // copy acc to vreg[155]
v_accvgpr_read_b32 v[vgprValuC+244], acc195 // copy acc to vreg[156]
v_accvgpr_read_b32 v[vgprValuC+247], acc211 // copy acc to vreg[157]
v_accvgpr_read_b32 v[vgprValuC+250], acc227 // copy acc to vreg[158]
v_accvgpr_read_b32 v[vgprValuC+253], acc243 // copy acc to vreg[159]
s_nop 1                                            // 2 wait states required before reading vgpr

/* rC *= alpha batchElements=[(2, 0, 2, 0), (2, 1, 2, 0), (2, 2, 2, 0), (2, 3, 2, 0), (2, 4, 2, 0), (2, 5, 2, 0), (2, 6, 2, 0), (2, 7, 2, 0), (2, 0, 3, 0), (2, 1, 3, 0), (2, 2, 3, 0), (2, 3, 3, 0), (2, 4, 3, 0), (2, 5, 3, 0), (2, 6, 3, 0), (2, 7, 3, 0), (3, 0, 0, 0), (3, 1, 0, 0), (3, 2, 0, 0), (3, 3, 0, 0), (3, 4, 0, 0), (3, 5, 0, 0), (3, 6, 0, 0), (3, 7, 0, 0), (3, 0, 1, 0), (3, 1, 1, 0), (3, 2, 1, 0), (3, 3, 1, 0), (3, 4, 1, 0), (3, 5, 1, 0), (3, 6, 1, 0), (3, 7, 1, 0), (3, 0, 2, 0), (3, 1, 2, 0), (3, 2, 2, 0), (3, 3, 2, 0), (3, 4, 2, 0), (3, 5, 2, 0), (3, 6, 2, 0), (3, 7, 2, 0), (3, 0, 3, 0), (3, 1, 3, 0), (3, 2, 3, 0), (3, 3, 3, 0), (3, 4, 3, 0), (3, 5, 3, 0), (3, 6, 3, 0), (3, 7, 3, 0), (4, 0, 0, 0), (4, 1, 0, 0), (4, 2, 0, 0), (4, 3, 0, 0), (4, 4, 0, 0), (4, 5, 0, 0), (4, 6, 0, 0), (4, 7, 0, 0), (4, 0, 1, 0), (4, 1, 1, 0), (4, 2, 1, 0), (4, 3, 1, 0), (4, 4, 1, 0), (4, 5, 1, 0), (4, 6, 1, 0), (4, 7, 1, 0), (4, 0, 2, 0), (4, 1, 2, 0), (4, 2, 2, 0), (4, 3, 2, 0), (4, 4, 2, 0), (4, 5, 2, 0), (4, 6, 2, 0), (4, 7, 2, 0), (4, 0, 3, 0), (4, 1, 3, 0), (4, 2, 3, 0), (4, 3, 3, 0), (4, 4, 3, 0), (4, 5, 3, 0), (4, 6, 3, 0), (4, 7, 3, 0)] */
v_mul_f32 v[vgprValuC+13], s[sgprAlpha], v[vgprValuC+13] // *= alpha
v_mul_f32 v[vgprValuC+16], s[sgprAlpha], v[vgprValuC+16] // *= alpha
	;; [unrolled: 1-line block ×80, first 2 shown]
s_waitcnt vmcnt(0)                                 // wait C

/* apply mask, calc new C and issue writes */
v_mov_b32 v10, 0x207                               // flag for Nan and +/- inf
v_mov_b32 v8, 0x47600000                           // save 57344.0f as max for clipping
v_mov_b32 v9, 0xC7600000                           // save -57344`.0f as min for clipping
v_cvt_f32_bf8 v6, v12 src0_sel:BYTE_0   // convert bf8 in lo_byte[0] to f32
_v_mac_f32 v[vgprValuC+13], v6, s[sgprBeta]        // finalSum = sum*alpha + C*beta
v_cmp_class_f32 s[52:53], v[vgprValuC+13], v10     // check NaN and +/-INF
v_med3_f32 v6, v[vgprValuC+13], v8, v9             // Clipping f32 value if exceeds the limit
v_cndmask_b32 v6, v6, v[vgprValuC+13], s[52:53]    // 
v_cvt_pk_bf8_f32  v13, v6, v6                      // convert f32 accumulated values to fp8
buffer_store_byte v13, v11, s[sgprSrdD:sgprSrdD+3], 0, offen, offset:0,  sc0 sc1 // store D
v_cvt_f32_bf8 v6, v15 src0_sel:BYTE_0   // convert bf8 in lo_byte[0] to f32
_v_mac_f32 v[vgprValuC+16], v6, s[sgprBeta]        // finalSum = sum*alpha + C*beta
v_cmp_class_f32 s[52:53], v[vgprValuC+16], v10     // check NaN and +/-INF
v_med3_f32 v6, v[vgprValuC+16], v8, v9             // Clipping f32 value if exceeds the limit
v_cndmask_b32 v6, v6, v[vgprValuC+16], s[52:53]    // 
v_cvt_pk_bf8_f32  v16, v6, v6                      // convert f32 accumulated values to fp8
buffer_store_byte v16, v14, s[sgprSrdD:sgprSrdD+3], 0, offen, offset:0,  sc0 sc1 // store D
	;; [unrolled: 7-line block ×29, first 2 shown]
v_cvt_f32_bf8 v6, v99 src0_sel:BYTE_0   // convert bf8 in lo_byte[0] to f32
_v_mac_f32 v[vgprValuC+100], v6, s[sgprBeta]       // finalSum = sum*alpha + C*beta
v_cmp_class_f32 s[52:53], v[vgprValuC+100], v10    // check NaN and +/-INF
v_med3_f32 v6, v[vgprValuC+100], v8, v9            // Clipping f32 value if exceeds the limit
v_cndmask_b32 v6, v6, v[vgprValuC+100], s[52:53]   // 
v_cvt_pk_bf8_f32  v100, v6, v6                     // convert f32 accumulated values to fp8
buffer_store_byte v100, v98, s[sgprSrdD:sgprSrdD+3], 0, offen, offset:0,  sc0 sc1 // store D
v_cvt_f32_bf8 v6, v102 src0_sel:BYTE_0   // convert bf8 in lo_byte[0] to f32
_v_mac_f32 v[vgprValuC+103], v6, s[sgprBeta]       // finalSum = sum*alpha + C*beta
v_cmp_class_f32 s[52:53], v[vgprValuC+103], v10    // check NaN and +/-INF
v_med3_f32 v6, v[vgprValuC+103], v8, v9            // Clipping f32 value if exceeds the limit
v_cndmask_b32 v6, v6, v[vgprValuC+103], s[52:53]   // 
v_cvt_pk_bf8_f32  v103, v6, v6                     // convert f32 accumulated values to fp8
buffer_store_byte v103, v101, s[sgprSrdD:sgprSrdD+3], 0, offen, offset:0,  sc0 sc1 // store D
	;; [unrolled: 7-line block ×51, first 2 shown]
s_nop 0                                            // 1 wait state required when next inst writes vgprs held by previous dwordx4 store inst
/* optSingleColVgpr=0 optSharedColVgpr=0 optSGPRUsage=BufferLoad_Edge_Mask optSrdIncForRow=0 */
s_sleep 3 // optimization: sync and wait
s_barrier

/******************************************/
/* Global Write Alpha Beta Edge Batch #2 (d1,d0,vc1,vc0) = */
/*    (5,0,0,0:vw1); (5,1,0,0:vw1); (5,2,0,0:vw1); (5,3,0,0:vw1); (5,4,0,0:vw1); (5,5,0,0:vw1); (5,6,0,0:vw1); (5,7,0,0:vw1); (5,0,1,0:vw1); (5,1,1,0:vw1); (5,2,1,0:vw1); (5,3,1,0:vw1); (5,4,1,0:vw1); (5,5,1,0:vw1); (5,6,1,0:vw1); (5,7,1,0:vw1); (5,0,2,0:vw1); (5,1,2,0:vw1); (5,2,2,0:vw1); (5,3,2,0:vw1); (5,4,2,0:vw1); (5,5,2,0:vw1); (5,6,2,0:vw1); (5,7,2,0:vw1); (5,0,3,0:vw1); (5,1,3,0:vw1); (5,2,3,0:vw1); (5,3,3,0:vw1); (5,4,3,0:vw1); (5,5,3,0:vw1); (5,6,3,0:vw1); (5,7,3,0:vw1); (6,0,0,0:vw1); (6,1,0,0:vw1); (6,2,0,0:vw1); (6,3,0,0:vw1); (6,4,0,0:vw1); (6,5,0,0:vw1); (6,6,0,0:vw1); (6,7,0,0:vw1); (6,0,1,0:vw1); (6,1,1,0:vw1); (6,2,1,0:vw1); (6,3,1,0:vw1); (6,4,1,0:vw1); (6,5,1,0:vw1); (6,6,1,0:vw1); (6,7,1,0:vw1); (6,0,2,0:vw1); (6,1,2,0:vw1); (6,2,2,0:vw1); (6,3,2,0:vw1); (6,4,2,0:vw1); (6,5,2,0:vw1); (6,6,2,0:vw1); (6,7,2,0:vw1); (6,0,3,0:vw1); (6,1,3,0:vw1); (6,2,3,0:vw1); (6,3,3,0:vw1); (6,4,3,0:vw1); (6,5,3,0:vw1); (6,6,3,0:vw1); (6,7,3,0:vw1); (7,0,0,0:vw1); (7,1,0,0:vw1); (7,2,0,0:vw1); (7,3,0,0:vw1); (7,4,0,0:vw1); (7,5,0,0:vw1); (7,6,0,0:vw1); (7,7,0,0:vw1); (7,0,1,0:vw1); (7,1,1,0:vw1); (7,2,1,0:vw1); (7,3,1,0:vw1); (7,4,1,0:vw1); (7,5,1,0:vw1); (7,6,1,0:vw1); (7,7,1,0:vw1) */
/******************************************/

/* calc coords, apply mask, and issue loads (if necessary) */
/* (d1,vc1,d0,vc0)=(5,0,0,0) */
_v_add_co_u32 v1, vcc, v1, 5                       // coord1.1: coord1Vgpr += d1*sg1*VW + vc1

/* Fix for UseInitialStridesCD, emitAddressSetupCode */
s_mul_i32 s52, s[sgprStrideC1J], 5                 // scale stride
_v_add_u32 v2, v2, s52                             // ROWINC- Move cinRowPtr to next row
s_mul_i32 s52, s[sgprStrideD1J], 5                 // scale stride
_v_add_u32 v3, v3, s52                             // Move coutRowPtr to next row
v_cmp_lt_u32 s[52:53], v0, s[sgprSizeI]            // coord0 < size0
v_cmp_lt_u32 s[56:57], v1, s[sgprSizeJ]            // coord1 < size1
s_and_b64 s[56:57], s[52:53], s[56:57]             // in0 && in1
_v_add_lshl_u32 v11, v2, v0, 0x0                   // scaleToBpe: accumulate d0 lower and *= bpe into Cin addr
v_cndmask_b32 v11, -1, v11, s[56:57]               // LDC clip if OOB. offset
buffer_load_ubyte v12, v11, s[sgprSrdC:sgprSrdC+3], 0, offen offset:0,  sc0 sc1 // load C for beta calc
_v_add_lshl_u32 v11, v3, v0, 0x0                   // scaleToBpe: accumulate d0 lower and *= bpe into Cin addr
v_cndmask_b32 v11, -1, v11, s[56:57]               // LDD clip if OOB. offset
/* (d1,vc1,d0,vc0)=(5,0,1,0) */
_v_add_co_u32 v4, vcc, v0, 32                      // coord0.1: coord0 += d0*sg0*VW + vc0
v_cmp_lt_u32 s[52:53], v4, s[sgprSizeI]            // coord0 < size0
v_cmp_lt_u32 s[56:57], v1, s[sgprSizeJ]            // coord1 < size1
s_and_b64 s[56:57], s[52:53], s[56:57]             // in0 && in1
_v_add_lshl_u32 v14, v2, v4, 0x0                   // scaleToBpe: accumulate d0 lower and *= bpe into Cin addr
v_cndmask_b32 v14, -1, v14, s[56:57]               // LDC clip if OOB. offset
buffer_load_ubyte v15, v14, s[sgprSrdC:sgprSrdC+3], 0, offen offset:0,  sc0 sc1 // load C for beta calc
_v_add_lshl_u32 v14, v3, v4, 0x0                   // scaleToBpe: accumulate d0 lower and *= bpe into Cin addr
v_cndmask_b32 v14, -1, v14, s[56:57]               // LDD clip if OOB. offset
/* (d1,vc1,d0,vc0)=(5,0,2,0) */
_v_add_co_u32 v4, vcc, v0, 64                      // coord0.1: coord0 += d0*sg0*VW + vc0
v_cmp_lt_u32 s[52:53], v4, s[sgprSizeI]            // coord0 < size0
v_cmp_lt_u32 s[56:57], v1, s[sgprSizeJ]            // coord1 < size1
s_and_b64 s[56:57], s[52:53], s[56:57]             // in0 && in1
_v_add_lshl_u32 v17, v2, v4, 0x0                   // scaleToBpe: accumulate d0 lower and *= bpe into Cin addr
v_cndmask_b32 v17, -1, v17, s[56:57]               // LDC clip if OOB. offset
buffer_load_ubyte v18, v17, s[sgprSrdC:sgprSrdC+3], 0, offen offset:0,  sc0 sc1 // load C for beta calc
_v_add_lshl_u32 v17, v3, v4, 0x0                   // scaleToBpe: accumulate d0 lower and *= bpe into Cin addr
v_cndmask_b32 v17, -1, v17, s[56:57]               // LDD clip if OOB. offset
/* (d1,vc1,d0,vc0)=(5,0,3,0) */
s_mov_b32 s52, 96                                  // coordOffset0 d0=3 vc0=0
_v_add_co_u32 v4, vcc, v0, s52                     // coord0.2: coord0 += d0*sg0*VW + vc0
v_cmp_lt_u32 s[52:53], v4, s[sgprSizeI]            // coord0 < size0
v_cmp_lt_u32 s[56:57], v1, s[sgprSizeJ]            // coord1 < size1
s_and_b64 s[56:57], s[52:53], s[56:57]             // in0 && in1
_v_add_lshl_u32 v20, v2, v4, 0x0                   // scaleToBpe: accumulate d0 lower and *= bpe into Cin addr
v_cndmask_b32 v20, -1, v20, s[56:57]               // LDC clip if OOB. offset
buffer_load_ubyte v21, v20, s[sgprSrdC:sgprSrdC+3], 0, offen offset:0,  sc0 sc1 // load C for beta calc
_v_add_lshl_u32 v20, v3, v4, 0x0                   // scaleToBpe: accumulate d0 lower and *= bpe into Cin addr
v_cndmask_b32 v20, -1, v20, s[56:57]               // LDD clip if OOB. offset
/* (d1,vc1,d0,vc0)=(5,0,4,0) */
s_mov_b32 s52, 128                                 // coordOffset0 d0=4 vc0=0
_v_add_co_u32 v4, vcc, v0, s52                     // coord0.2: coord0 += d0*sg0*VW + vc0
v_cmp_lt_u32 s[52:53], v4, s[sgprSizeI]            // coord0 < size0
v_cmp_lt_u32 s[56:57], v1, s[sgprSizeJ]            // coord1 < size1
s_and_b64 s[56:57], s[52:53], s[56:57]             // in0 && in1
_v_add_lshl_u32 v23, v2, v4, 0x0                   // scaleToBpe: accumulate d0 lower and *= bpe into Cin addr
v_cndmask_b32 v23, -1, v23, s[56:57]               // LDC clip if OOB. offset
buffer_load_ubyte v24, v23, s[sgprSrdC:sgprSrdC+3], 0, offen offset:0,  sc0 sc1 // load C for beta calc
_v_add_lshl_u32 v23, v3, v4, 0x0                   // scaleToBpe: accumulate d0 lower and *= bpe into Cin addr
v_cndmask_b32 v23, -1, v23, s[56:57]               // LDD clip if OOB. offset
/* (d1,vc1,d0,vc0)=(5,0,5,0) */
s_mov_b32 s52, 160                                 // coordOffset0 d0=5 vc0=0
	;; [unrolled: 11-line block ×4, first 2 shown]
_v_add_co_u32 v4, vcc, v0, s52                     // coord0.2: coord0 += d0*sg0*VW + vc0
v_cmp_lt_u32 s[52:53], v4, s[sgprSizeI]            // coord0 < size0
v_cmp_lt_u32 s[56:57], v1, s[sgprSizeJ]            // coord1 < size1
s_and_b64 s[56:57], s[52:53], s[56:57]             // in0 && in1
_v_add_lshl_u32 v32, v2, v4, 0x0                   // scaleToBpe: accumulate d0 lower and *= bpe into Cin addr
v_cndmask_b32 v32, -1, v32, s[56:57]               // LDC clip if OOB. offset
buffer_load_ubyte v33, v32, s[sgprSrdC:sgprSrdC+3], 0, offen offset:0,  sc0 sc1 // load C for beta calc
_v_add_lshl_u32 v32, v3, v4, 0x0                   // scaleToBpe: accumulate d0 lower and *= bpe into Cin addr
v_cndmask_b32 v32, -1, v32, s[56:57]               // LDD clip if OOB. offset
/* (d1,vc1,d0,vc0)=(5,1,0,0) */
_v_add_co_u32 v1, vcc, v1, 1                       // coord1.1: coord1Vgpr += d1*sg1*VW + vc1

/* Fix for UseInitialStridesCD, emitAddressSetupCode */
_v_add_u32 v2, v2, s[sgprStrideC1J]                // ROWINC- Move cinRowPtr to next row
_v_add_u32 v3, v3, s[sgprStrideD1J]                // Move coutRowPtr to next row
v_cmp_lt_u32 s[52:53], v0, s[sgprSizeI]            // coord0 < size0
v_cmp_lt_u32 s[56:57], v1, s[sgprSizeJ]            // coord1 < size1
s_and_b64 s[56:57], s[52:53], s[56:57]             // in0 && in1
_v_add_lshl_u32 v35, v2, v0, 0x0                   // scaleToBpe: accumulate d0 lower and *= bpe into Cin addr
v_cndmask_b32 v35, -1, v35, s[56:57]               // LDC clip if OOB. offset
buffer_load_ubyte v36, v35, s[sgprSrdC:sgprSrdC+3], 0, offen offset:0,  sc0 sc1 // load C for beta calc
_v_add_lshl_u32 v35, v3, v0, 0x0                   // scaleToBpe: accumulate d0 lower and *= bpe into Cin addr
v_cndmask_b32 v35, -1, v35, s[56:57]               // LDD clip if OOB. offset
/* (d1,vc1,d0,vc0)=(5,1,1,0) */
_v_add_co_u32 v4, vcc, v0, 32                      // coord0.1: coord0 += d0*sg0*VW + vc0
v_cmp_lt_u32 s[52:53], v4, s[sgprSizeI]            // coord0 < size0
v_cmp_lt_u32 s[56:57], v1, s[sgprSizeJ]            // coord1 < size1
s_and_b64 s[56:57], s[52:53], s[56:57]             // in0 && in1
_v_add_lshl_u32 v38, v2, v4, 0x0                   // scaleToBpe: accumulate d0 lower and *= bpe into Cin addr
v_cndmask_b32 v38, -1, v38, s[56:57]               // LDC clip if OOB. offset
buffer_load_ubyte v39, v38, s[sgprSrdC:sgprSrdC+3], 0, offen offset:0,  sc0 sc1 // load C for beta calc
_v_add_lshl_u32 v38, v3, v4, 0x0                   // scaleToBpe: accumulate d0 lower and *= bpe into Cin addr
v_cndmask_b32 v38, -1, v38, s[56:57]               // LDD clip if OOB. offset
/* (d1,vc1,d0,vc0)=(5,1,2,0) */
_v_add_co_u32 v4, vcc, v0, 64                      // coord0.1: coord0 += d0*sg0*VW + vc0
v_cmp_lt_u32 s[52:53], v4, s[sgprSizeI]            // coord0 < size0
v_cmp_lt_u32 s[56:57], v1, s[sgprSizeJ]            // coord1 < size1
s_and_b64 s[56:57], s[52:53], s[56:57]             // in0 && in1
_v_add_lshl_u32 v41, v2, v4, 0x0                   // scaleToBpe: accumulate d0 lower and *= bpe into Cin addr
v_cndmask_b32 v41, -1, v41, s[56:57]               // LDC clip if OOB. offset
buffer_load_ubyte v42, v41, s[sgprSrdC:sgprSrdC+3], 0, offen offset:0,  sc0 sc1 // load C for beta calc
_v_add_lshl_u32 v41, v3, v4, 0x0                   // scaleToBpe: accumulate d0 lower and *= bpe into Cin addr
v_cndmask_b32 v41, -1, v41, s[56:57]               // LDD clip if OOB. offset
/* (d1,vc1,d0,vc0)=(5,1,3,0) */
s_mov_b32 s52, 96                                  // coordOffset0 d0=3 vc0=0
_v_add_co_u32 v4, vcc, v0, s52                     // coord0.2: coord0 += d0*sg0*VW + vc0
v_cmp_lt_u32 s[52:53], v4, s[sgprSizeI]            // coord0 < size0
v_cmp_lt_u32 s[56:57], v1, s[sgprSizeJ]            // coord1 < size1
s_and_b64 s[56:57], s[52:53], s[56:57]             // in0 && in1
_v_add_lshl_u32 v44, v2, v4, 0x0                   // scaleToBpe: accumulate d0 lower and *= bpe into Cin addr
v_cndmask_b32 v44, -1, v44, s[56:57]               // LDC clip if OOB. offset
buffer_load_ubyte v45, v44, s[sgprSrdC:sgprSrdC+3], 0, offen offset:0,  sc0 sc1 // load C for beta calc
_v_add_lshl_u32 v44, v3, v4, 0x0                   // scaleToBpe: accumulate d0 lower and *= bpe into Cin addr
v_cndmask_b32 v44, -1, v44, s[56:57]               // LDD clip if OOB. offset
/* (d1,vc1,d0,vc0)=(5,1,4,0) */
s_mov_b32 s52, 128                                 // coordOffset0 d0=4 vc0=0
_v_add_co_u32 v4, vcc, v0, s52                     // coord0.2: coord0 += d0*sg0*VW + vc0
v_cmp_lt_u32 s[52:53], v4, s[sgprSizeI]            // coord0 < size0
v_cmp_lt_u32 s[56:57], v1, s[sgprSizeJ]            // coord1 < size1
s_and_b64 s[56:57], s[52:53], s[56:57]             // in0 && in1
_v_add_lshl_u32 v47, v2, v4, 0x0                   // scaleToBpe: accumulate d0 lower and *= bpe into Cin addr
v_cndmask_b32 v47, -1, v47, s[56:57]               // LDC clip if OOB. offset
buffer_load_ubyte v48, v47, s[sgprSrdC:sgprSrdC+3], 0, offen offset:0,  sc0 sc1 // load C for beta calc
_v_add_lshl_u32 v47, v3, v4, 0x0                   // scaleToBpe: accumulate d0 lower and *= bpe into Cin addr
v_cndmask_b32 v47, -1, v47, s[56:57]               // LDD clip if OOB. offset
/* (d1,vc1,d0,vc0)=(5,1,5,0) */
s_mov_b32 s52, 160                                 // coordOffset0 d0=5 vc0=0
	;; [unrolled: 11-line block ×4, first 2 shown]
_v_add_co_u32 v4, vcc, v0, s52                     // coord0.2: coord0 += d0*sg0*VW + vc0
v_cmp_lt_u32 s[52:53], v4, s[sgprSizeI]            // coord0 < size0
v_cmp_lt_u32 s[56:57], v1, s[sgprSizeJ]            // coord1 < size1
s_and_b64 s[56:57], s[52:53], s[56:57]             // in0 && in1
_v_add_lshl_u32 v56, v2, v4, 0x0                   // scaleToBpe: accumulate d0 lower and *= bpe into Cin addr
v_cndmask_b32 v56, -1, v56, s[56:57]               // LDC clip if OOB. offset
buffer_load_ubyte v57, v56, s[sgprSrdC:sgprSrdC+3], 0, offen offset:0,  sc0 sc1 // load C for beta calc
_v_add_lshl_u32 v56, v3, v4, 0x0                   // scaleToBpe: accumulate d0 lower and *= bpe into Cin addr
v_cndmask_b32 v56, -1, v56, s[56:57]               // LDD clip if OOB. offset
/* (d1,vc1,d0,vc0)=(5,2,0,0) */
_v_add_co_u32 v1, vcc, v1, 1                       // coord1.1: coord1Vgpr += d1*sg1*VW + vc1

/* Fix for UseInitialStridesCD, emitAddressSetupCode */
_v_add_u32 v2, v2, s[sgprStrideC1J]                // ROWINC- Move cinRowPtr to next row
_v_add_u32 v3, v3, s[sgprStrideD1J]                // Move coutRowPtr to next row
v_cmp_lt_u32 s[52:53], v0, s[sgprSizeI]            // coord0 < size0
v_cmp_lt_u32 s[56:57], v1, s[sgprSizeJ]            // coord1 < size1
s_and_b64 s[56:57], s[52:53], s[56:57]             // in0 && in1
_v_add_lshl_u32 v59, v2, v0, 0x0                   // scaleToBpe: accumulate d0 lower and *= bpe into Cin addr
v_cndmask_b32 v59, -1, v59, s[56:57]               // LDC clip if OOB. offset
buffer_load_ubyte v60, v59, s[sgprSrdC:sgprSrdC+3], 0, offen offset:0,  sc0 sc1 // load C for beta calc
_v_add_lshl_u32 v59, v3, v0, 0x0                   // scaleToBpe: accumulate d0 lower and *= bpe into Cin addr
v_cndmask_b32 v59, -1, v59, s[56:57]               // LDD clip if OOB. offset
/* (d1,vc1,d0,vc0)=(5,2,1,0) */
_v_add_co_u32 v4, vcc, v0, 32                      // coord0.1: coord0 += d0*sg0*VW + vc0
v_cmp_lt_u32 s[52:53], v4, s[sgprSizeI]            // coord0 < size0
v_cmp_lt_u32 s[56:57], v1, s[sgprSizeJ]            // coord1 < size1
s_and_b64 s[56:57], s[52:53], s[56:57]             // in0 && in1
_v_add_lshl_u32 v62, v2, v4, 0x0                   // scaleToBpe: accumulate d0 lower and *= bpe into Cin addr
v_cndmask_b32 v62, -1, v62, s[56:57]               // LDC clip if OOB. offset
buffer_load_ubyte v63, v62, s[sgprSrdC:sgprSrdC+3], 0, offen offset:0,  sc0 sc1 // load C for beta calc
_v_add_lshl_u32 v62, v3, v4, 0x0                   // scaleToBpe: accumulate d0 lower and *= bpe into Cin addr
v_cndmask_b32 v62, -1, v62, s[56:57]               // LDD clip if OOB. offset
/* (d1,vc1,d0,vc0)=(5,2,2,0) */
_v_add_co_u32 v4, vcc, v0, 64                      // coord0.1: coord0 += d0*sg0*VW + vc0
v_cmp_lt_u32 s[52:53], v4, s[sgprSizeI]            // coord0 < size0
v_cmp_lt_u32 s[56:57], v1, s[sgprSizeJ]            // coord1 < size1
s_and_b64 s[56:57], s[52:53], s[56:57]             // in0 && in1
_v_add_lshl_u32 v65, v2, v4, 0x0                   // scaleToBpe: accumulate d0 lower and *= bpe into Cin addr
v_cndmask_b32 v65, -1, v65, s[56:57]               // LDC clip if OOB. offset
buffer_load_ubyte v66, v65, s[sgprSrdC:sgprSrdC+3], 0, offen offset:0,  sc0 sc1 // load C for beta calc
_v_add_lshl_u32 v65, v3, v4, 0x0                   // scaleToBpe: accumulate d0 lower and *= bpe into Cin addr
v_cndmask_b32 v65, -1, v65, s[56:57]               // LDD clip if OOB. offset
/* (d1,vc1,d0,vc0)=(5,2,3,0) */
s_mov_b32 s52, 96                                  // coordOffset0 d0=3 vc0=0
_v_add_co_u32 v4, vcc, v0, s52                     // coord0.2: coord0 += d0*sg0*VW + vc0
v_cmp_lt_u32 s[52:53], v4, s[sgprSizeI]            // coord0 < size0
v_cmp_lt_u32 s[56:57], v1, s[sgprSizeJ]            // coord1 < size1
s_and_b64 s[56:57], s[52:53], s[56:57]             // in0 && in1
_v_add_lshl_u32 v68, v2, v4, 0x0                   // scaleToBpe: accumulate d0 lower and *= bpe into Cin addr
v_cndmask_b32 v68, -1, v68, s[56:57]               // LDC clip if OOB. offset
buffer_load_ubyte v69, v68, s[sgprSrdC:sgprSrdC+3], 0, offen offset:0,  sc0 sc1 // load C for beta calc
_v_add_lshl_u32 v68, v3, v4, 0x0                   // scaleToBpe: accumulate d0 lower and *= bpe into Cin addr
v_cndmask_b32 v68, -1, v68, s[56:57]               // LDD clip if OOB. offset
/* (d1,vc1,d0,vc0)=(5,2,4,0) */
s_mov_b32 s52, 128                                 // coordOffset0 d0=4 vc0=0
_v_add_co_u32 v4, vcc, v0, s52                     // coord0.2: coord0 += d0*sg0*VW + vc0
v_cmp_lt_u32 s[52:53], v4, s[sgprSizeI]            // coord0 < size0
v_cmp_lt_u32 s[56:57], v1, s[sgprSizeJ]            // coord1 < size1
s_and_b64 s[56:57], s[52:53], s[56:57]             // in0 && in1
_v_add_lshl_u32 v71, v2, v4, 0x0                   // scaleToBpe: accumulate d0 lower and *= bpe into Cin addr
v_cndmask_b32 v71, -1, v71, s[56:57]               // LDC clip if OOB. offset
buffer_load_ubyte v72, v71, s[sgprSrdC:sgprSrdC+3], 0, offen offset:0,  sc0 sc1 // load C for beta calc
_v_add_lshl_u32 v71, v3, v4, 0x0                   // scaleToBpe: accumulate d0 lower and *= bpe into Cin addr
v_cndmask_b32 v71, -1, v71, s[56:57]               // LDD clip if OOB. offset
/* (d1,vc1,d0,vc0)=(5,2,5,0) */
s_mov_b32 s52, 160                                 // coordOffset0 d0=5 vc0=0
	;; [unrolled: 11-line block ×4, first 2 shown]
_v_add_co_u32 v4, vcc, v0, s52                     // coord0.2: coord0 += d0*sg0*VW + vc0
v_cmp_lt_u32 s[52:53], v4, s[sgprSizeI]            // coord0 < size0
v_cmp_lt_u32 s[56:57], v1, s[sgprSizeJ]            // coord1 < size1
s_and_b64 s[56:57], s[52:53], s[56:57]             // in0 && in1
_v_add_lshl_u32 v80, v2, v4, 0x0                   // scaleToBpe: accumulate d0 lower and *= bpe into Cin addr
v_cndmask_b32 v80, -1, v80, s[56:57]               // LDC clip if OOB. offset
buffer_load_ubyte v81, v80, s[sgprSrdC:sgprSrdC+3], 0, offen offset:0,  sc0 sc1 // load C for beta calc
_v_add_lshl_u32 v80, v3, v4, 0x0                   // scaleToBpe: accumulate d0 lower and *= bpe into Cin addr
v_cndmask_b32 v80, -1, v80, s[56:57]               // LDD clip if OOB. offset
/* (d1,vc1,d0,vc0)=(5,3,0,0) */
_v_add_co_u32 v1, vcc, v1, 1                       // coord1.1: coord1Vgpr += d1*sg1*VW + vc1

/* Fix for UseInitialStridesCD, emitAddressSetupCode */
_v_add_u32 v2, v2, s[sgprStrideC1J]                // ROWINC- Move cinRowPtr to next row
_v_add_u32 v3, v3, s[sgprStrideD1J]                // Move coutRowPtr to next row
v_cmp_lt_u32 s[52:53], v0, s[sgprSizeI]            // coord0 < size0
v_cmp_lt_u32 s[56:57], v1, s[sgprSizeJ]            // coord1 < size1
s_and_b64 s[56:57], s[52:53], s[56:57]             // in0 && in1
_v_add_lshl_u32 v83, v2, v0, 0x0                   // scaleToBpe: accumulate d0 lower and *= bpe into Cin addr
v_cndmask_b32 v83, -1, v83, s[56:57]               // LDC clip if OOB. offset
buffer_load_ubyte v84, v83, s[sgprSrdC:sgprSrdC+3], 0, offen offset:0,  sc0 sc1 // load C for beta calc
_v_add_lshl_u32 v83, v3, v0, 0x0                   // scaleToBpe: accumulate d0 lower and *= bpe into Cin addr
v_cndmask_b32 v83, -1, v83, s[56:57]               // LDD clip if OOB. offset
/* (d1,vc1,d0,vc0)=(5,3,1,0) */
_v_add_co_u32 v4, vcc, v0, 32                      // coord0.1: coord0 += d0*sg0*VW + vc0
v_cmp_lt_u32 s[52:53], v4, s[sgprSizeI]            // coord0 < size0
v_cmp_lt_u32 s[56:57], v1, s[sgprSizeJ]            // coord1 < size1
s_and_b64 s[56:57], s[52:53], s[56:57]             // in0 && in1
_v_add_lshl_u32 v86, v2, v4, 0x0                   // scaleToBpe: accumulate d0 lower and *= bpe into Cin addr
v_cndmask_b32 v86, -1, v86, s[56:57]               // LDC clip if OOB. offset
buffer_load_ubyte v87, v86, s[sgprSrdC:sgprSrdC+3], 0, offen offset:0,  sc0 sc1 // load C for beta calc
_v_add_lshl_u32 v86, v3, v4, 0x0                   // scaleToBpe: accumulate d0 lower and *= bpe into Cin addr
v_cndmask_b32 v86, -1, v86, s[56:57]               // LDD clip if OOB. offset
/* (d1,vc1,d0,vc0)=(5,3,2,0) */
_v_add_co_u32 v4, vcc, v0, 64                      // coord0.1: coord0 += d0*sg0*VW + vc0
v_cmp_lt_u32 s[52:53], v4, s[sgprSizeI]            // coord0 < size0
v_cmp_lt_u32 s[56:57], v1, s[sgprSizeJ]            // coord1 < size1
s_and_b64 s[56:57], s[52:53], s[56:57]             // in0 && in1
_v_add_lshl_u32 v89, v2, v4, 0x0                   // scaleToBpe: accumulate d0 lower and *= bpe into Cin addr
v_cndmask_b32 v89, -1, v89, s[56:57]               // LDC clip if OOB. offset
buffer_load_ubyte v90, v89, s[sgprSrdC:sgprSrdC+3], 0, offen offset:0,  sc0 sc1 // load C for beta calc
_v_add_lshl_u32 v89, v3, v4, 0x0                   // scaleToBpe: accumulate d0 lower and *= bpe into Cin addr
v_cndmask_b32 v89, -1, v89, s[56:57]               // LDD clip if OOB. offset
/* (d1,vc1,d0,vc0)=(5,3,3,0) */
s_mov_b32 s52, 96                                  // coordOffset0 d0=3 vc0=0
_v_add_co_u32 v4, vcc, v0, s52                     // coord0.2: coord0 += d0*sg0*VW + vc0
v_cmp_lt_u32 s[52:53], v4, s[sgprSizeI]            // coord0 < size0
v_cmp_lt_u32 s[56:57], v1, s[sgprSizeJ]            // coord1 < size1
s_and_b64 s[56:57], s[52:53], s[56:57]             // in0 && in1
_v_add_lshl_u32 v92, v2, v4, 0x0                   // scaleToBpe: accumulate d0 lower and *= bpe into Cin addr
v_cndmask_b32 v92, -1, v92, s[56:57]               // LDC clip if OOB. offset
buffer_load_ubyte v93, v92, s[sgprSrdC:sgprSrdC+3], 0, offen offset:0,  sc0 sc1 // load C for beta calc
_v_add_lshl_u32 v92, v3, v4, 0x0                   // scaleToBpe: accumulate d0 lower and *= bpe into Cin addr
v_cndmask_b32 v92, -1, v92, s[56:57]               // LDD clip if OOB. offset
/* (d1,vc1,d0,vc0)=(5,3,4,0) */
s_mov_b32 s52, 128                                 // coordOffset0 d0=4 vc0=0
_v_add_co_u32 v4, vcc, v0, s52                     // coord0.2: coord0 += d0*sg0*VW + vc0
v_cmp_lt_u32 s[52:53], v4, s[sgprSizeI]            // coord0 < size0
v_cmp_lt_u32 s[56:57], v1, s[sgprSizeJ]            // coord1 < size1
s_and_b64 s[56:57], s[52:53], s[56:57]             // in0 && in1
_v_add_lshl_u32 v95, v2, v4, 0x0                   // scaleToBpe: accumulate d0 lower and *= bpe into Cin addr
v_cndmask_b32 v95, -1, v95, s[56:57]               // LDC clip if OOB. offset
buffer_load_ubyte v96, v95, s[sgprSrdC:sgprSrdC+3], 0, offen offset:0,  sc0 sc1 // load C for beta calc
_v_add_lshl_u32 v95, v3, v4, 0x0                   // scaleToBpe: accumulate d0 lower and *= bpe into Cin addr
v_cndmask_b32 v95, -1, v95, s[56:57]               // LDD clip if OOB. offset
/* (d1,vc1,d0,vc0)=(5,3,5,0) */
s_mov_b32 s52, 160                                 // coordOffset0 d0=5 vc0=0
	;; [unrolled: 11-line block ×3, first 2 shown]
_v_add_co_u32 v4, vcc, v0, s52                     // coord0.2: coord0 += d0*sg0*VW + vc0
v_cmp_lt_u32 s[52:53], v4, s[sgprSizeI]            // coord0 < size0
v_cmp_lt_u32 s[56:57], v1, s[sgprSizeJ]            // coord1 < size1
s_and_b64 s[56:57], s[52:53], s[56:57]             // in0 && in1
_v_add_lshl_u32 v101, v2, v4, 0x0                  // scaleToBpe: accumulate d0 lower and *= bpe into Cin addr
v_cndmask_b32 v101, -1, v101, s[56:57]             // LDC clip if OOB. offset
buffer_load_ubyte v102, v101, s[sgprSrdC:sgprSrdC+3], 0, offen offset:0,  sc0 sc1 // load C for beta calc
_v_add_lshl_u32 v101, v3, v4, 0x0                  // scaleToBpe: accumulate d0 lower and *= bpe into Cin addr
v_cndmask_b32 v101, -1, v101, s[56:57]             // LDD clip if OOB. offset
/* (d1,vc1,d0,vc0)=(5,3,7,0) */
s_mov_b32 s52, 224                                 // coordOffset0 d0=7 vc0=0
_v_add_co_u32 v4, vcc, v0, s52                     // coord0.2: coord0 += d0*sg0*VW + vc0
v_cmp_lt_u32 s[52:53], v4, s[sgprSizeI]            // coord0 < size0
v_cmp_lt_u32 s[56:57], v1, s[sgprSizeJ]            // coord1 < size1
s_and_b64 s[56:57], s[52:53], s[56:57]             // in0 && in1
_v_add_lshl_u32 v104, v2, v4, 0x0                  // scaleToBpe: accumulate d0 lower and *= bpe into Cin addr
v_cndmask_b32 v104, -1, v104, s[56:57]             // LDC clip if OOB. offset
buffer_load_ubyte v105, v104, s[sgprSrdC:sgprSrdC+3], 0, offen offset:0,  sc0 sc1 // load C for beta calc
_v_add_lshl_u32 v104, v3, v4, 0x0                  // scaleToBpe: accumulate d0 lower and *= bpe into Cin addr
v_cndmask_b32 v104, -1, v104, s[56:57]             // LDD clip if OOB. offset
/* (d1,vc1,d0,vc0)=(6,0,0,0) */
_v_add_co_u32 v1, vcc, v1, 5                       // coord1.1: coord1Vgpr += d1*sg1*VW + vc1

/* Fix for UseInitialStridesCD, emitAddressSetupCode */
s_mul_i32 s52, s[sgprStrideC1J], 5                 // scale stride
_v_add_u32 v2, v2, s52                             // ROWINC- Move cinRowPtr to next row
s_mul_i32 s52, s[sgprStrideD1J], 5                 // scale stride
_v_add_u32 v3, v3, s52                             // Move coutRowPtr to next row
v_cmp_lt_u32 s[52:53], v0, s[sgprSizeI]            // coord0 < size0
v_cmp_lt_u32 s[56:57], v1, s[sgprSizeJ]            // coord1 < size1
s_and_b64 s[56:57], s[52:53], s[56:57]             // in0 && in1
_v_add_lshl_u32 v107, v2, v0, 0x0                  // scaleToBpe: accumulate d0 lower and *= bpe into Cin addr
v_cndmask_b32 v107, -1, v107, s[56:57]             // LDC clip if OOB. offset
buffer_load_ubyte v108, v107, s[sgprSrdC:sgprSrdC+3], 0, offen offset:0,  sc0 sc1 // load C for beta calc
_v_add_lshl_u32 v107, v3, v0, 0x0                  // scaleToBpe: accumulate d0 lower and *= bpe into Cin addr
v_cndmask_b32 v107, -1, v107, s[56:57]             // LDD clip if OOB. offset
/* (d1,vc1,d0,vc0)=(6,0,1,0) */
_v_add_co_u32 v4, vcc, v0, 32                      // coord0.1: coord0 += d0*sg0*VW + vc0
v_cmp_lt_u32 s[52:53], v4, s[sgprSizeI]            // coord0 < size0
v_cmp_lt_u32 s[56:57], v1, s[sgprSizeJ]            // coord1 < size1
s_and_b64 s[56:57], s[52:53], s[56:57]             // in0 && in1
_v_add_lshl_u32 v110, v2, v4, 0x0                  // scaleToBpe: accumulate d0 lower and *= bpe into Cin addr
v_cndmask_b32 v110, -1, v110, s[56:57]             // LDC clip if OOB. offset
buffer_load_ubyte v111, v110, s[sgprSrdC:sgprSrdC+3], 0, offen offset:0,  sc0 sc1 // load C for beta calc
_v_add_lshl_u32 v110, v3, v4, 0x0                  // scaleToBpe: accumulate d0 lower and *= bpe into Cin addr
v_cndmask_b32 v110, -1, v110, s[56:57]             // LDD clip if OOB. offset
/* (d1,vc1,d0,vc0)=(6,0,2,0) */
_v_add_co_u32 v4, vcc, v0, 64                      // coord0.1: coord0 += d0*sg0*VW + vc0
v_cmp_lt_u32 s[52:53], v4, s[sgprSizeI]            // coord0 < size0
v_cmp_lt_u32 s[56:57], v1, s[sgprSizeJ]            // coord1 < size1
s_and_b64 s[56:57], s[52:53], s[56:57]             // in0 && in1
_v_add_lshl_u32 v113, v2, v4, 0x0                  // scaleToBpe: accumulate d0 lower and *= bpe into Cin addr
v_cndmask_b32 v113, -1, v113, s[56:57]             // LDC clip if OOB. offset
buffer_load_ubyte v114, v113, s[sgprSrdC:sgprSrdC+3], 0, offen offset:0,  sc0 sc1 // load C for beta calc
_v_add_lshl_u32 v113, v3, v4, 0x0                  // scaleToBpe: accumulate d0 lower and *= bpe into Cin addr
v_cndmask_b32 v113, -1, v113, s[56:57]             // LDD clip if OOB. offset
/* (d1,vc1,d0,vc0)=(6,0,3,0) */
s_mov_b32 s52, 96                                  // coordOffset0 d0=3 vc0=0
_v_add_co_u32 v4, vcc, v0, s52                     // coord0.2: coord0 += d0*sg0*VW + vc0
v_cmp_lt_u32 s[52:53], v4, s[sgprSizeI]            // coord0 < size0
v_cmp_lt_u32 s[56:57], v1, s[sgprSizeJ]            // coord1 < size1
s_and_b64 s[56:57], s[52:53], s[56:57]             // in0 && in1
_v_add_lshl_u32 v119, v2, v4, 0x0                  // scaleToBpe: accumulate d0 lower and *= bpe into Cin addr
v_cndmask_b32 v119, -1, v119, s[56:57]             // LDC clip if OOB. offset
buffer_load_ubyte v120, v119, s[sgprSrdC:sgprSrdC+3], 0, offen offset:0,  sc0 sc1 // load C for beta calc
_v_add_lshl_u32 v119, v3, v4, 0x0                  // scaleToBpe: accumulate d0 lower and *= bpe into Cin addr
v_cndmask_b32 v119, -1, v119, s[56:57]             // LDD clip if OOB. offset
/* (d1,vc1,d0,vc0)=(6,0,4,0) */
s_mov_b32 s52, 128                                 // coordOffset0 d0=4 vc0=0
_v_add_co_u32 v4, vcc, v0, s52                     // coord0.2: coord0 += d0*sg0*VW + vc0
v_cmp_lt_u32 s[52:53], v4, s[sgprSizeI]            // coord0 < size0
v_cmp_lt_u32 s[56:57], v1, s[sgprSizeJ]            // coord1 < size1
s_and_b64 s[56:57], s[52:53], s[56:57]             // in0 && in1
_v_add_lshl_u32 v122, v2, v4, 0x0                  // scaleToBpe: accumulate d0 lower and *= bpe into Cin addr
v_cndmask_b32 v122, -1, v122, s[56:57]             // LDC clip if OOB. offset
buffer_load_ubyte v123, v122, s[sgprSrdC:sgprSrdC+3], 0, offen offset:0,  sc0 sc1 // load C for beta calc
_v_add_lshl_u32 v122, v3, v4, 0x0                  // scaleToBpe: accumulate d0 lower and *= bpe into Cin addr
v_cndmask_b32 v122, -1, v122, s[56:57]             // LDD clip if OOB. offset
/* (d1,vc1,d0,vc0)=(6,0,5,0) */
s_mov_b32 s52, 160                                 // coordOffset0 d0=5 vc0=0
	;; [unrolled: 11-line block ×4, first 2 shown]
_v_add_co_u32 v4, vcc, v0, s52                     // coord0.2: coord0 += d0*sg0*VW + vc0
v_cmp_lt_u32 s[52:53], v4, s[sgprSizeI]            // coord0 < size0
v_cmp_lt_u32 s[56:57], v1, s[sgprSizeJ]            // coord1 < size1
s_and_b64 s[56:57], s[52:53], s[56:57]             // in0 && in1
_v_add_lshl_u32 v131, v2, v4, 0x0                  // scaleToBpe: accumulate d0 lower and *= bpe into Cin addr
v_cndmask_b32 v131, -1, v131, s[56:57]             // LDC clip if OOB. offset
buffer_load_ubyte v132, v131, s[sgprSrdC:sgprSrdC+3], 0, offen offset:0,  sc0 sc1 // load C for beta calc
_v_add_lshl_u32 v131, v3, v4, 0x0                  // scaleToBpe: accumulate d0 lower and *= bpe into Cin addr
v_cndmask_b32 v131, -1, v131, s[56:57]             // LDD clip if OOB. offset
/* (d1,vc1,d0,vc0)=(6,1,0,0) */
_v_add_co_u32 v1, vcc, v1, 1                       // coord1.1: coord1Vgpr += d1*sg1*VW + vc1

/* Fix for UseInitialStridesCD, emitAddressSetupCode */
_v_add_u32 v2, v2, s[sgprStrideC1J]                // ROWINC- Move cinRowPtr to next row
_v_add_u32 v3, v3, s[sgprStrideD1J]                // Move coutRowPtr to next row
v_cmp_lt_u32 s[52:53], v0, s[sgprSizeI]            // coord0 < size0
v_cmp_lt_u32 s[56:57], v1, s[sgprSizeJ]            // coord1 < size1
s_and_b64 s[56:57], s[52:53], s[56:57]             // in0 && in1
_v_add_lshl_u32 v134, v2, v0, 0x0                  // scaleToBpe: accumulate d0 lower and *= bpe into Cin addr
v_cndmask_b32 v134, -1, v134, s[56:57]             // LDC clip if OOB. offset
buffer_load_ubyte v135, v134, s[sgprSrdC:sgprSrdC+3], 0, offen offset:0,  sc0 sc1 // load C for beta calc
_v_add_lshl_u32 v134, v3, v0, 0x0                  // scaleToBpe: accumulate d0 lower and *= bpe into Cin addr
v_cndmask_b32 v134, -1, v134, s[56:57]             // LDD clip if OOB. offset
/* (d1,vc1,d0,vc0)=(6,1,1,0) */
_v_add_co_u32 v4, vcc, v0, 32                      // coord0.1: coord0 += d0*sg0*VW + vc0
v_cmp_lt_u32 s[52:53], v4, s[sgprSizeI]            // coord0 < size0
v_cmp_lt_u32 s[56:57], v1, s[sgprSizeJ]            // coord1 < size1
s_and_b64 s[56:57], s[52:53], s[56:57]             // in0 && in1
_v_add_lshl_u32 v137, v2, v4, 0x0                  // scaleToBpe: accumulate d0 lower and *= bpe into Cin addr
v_cndmask_b32 v137, -1, v137, s[56:57]             // LDC clip if OOB. offset
buffer_load_ubyte v138, v137, s[sgprSrdC:sgprSrdC+3], 0, offen offset:0,  sc0 sc1 // load C for beta calc
_v_add_lshl_u32 v137, v3, v4, 0x0                  // scaleToBpe: accumulate d0 lower and *= bpe into Cin addr
v_cndmask_b32 v137, -1, v137, s[56:57]             // LDD clip if OOB. offset
/* (d1,vc1,d0,vc0)=(6,1,2,0) */
_v_add_co_u32 v4, vcc, v0, 64                      // coord0.1: coord0 += d0*sg0*VW + vc0
v_cmp_lt_u32 s[52:53], v4, s[sgprSizeI]            // coord0 < size0
v_cmp_lt_u32 s[56:57], v1, s[sgprSizeJ]            // coord1 < size1
s_and_b64 s[56:57], s[52:53], s[56:57]             // in0 && in1
_v_add_lshl_u32 v140, v2, v4, 0x0                  // scaleToBpe: accumulate d0 lower and *= bpe into Cin addr
v_cndmask_b32 v140, -1, v140, s[56:57]             // LDC clip if OOB. offset
buffer_load_ubyte v141, v140, s[sgprSrdC:sgprSrdC+3], 0, offen offset:0,  sc0 sc1 // load C for beta calc
_v_add_lshl_u32 v140, v3, v4, 0x0                  // scaleToBpe: accumulate d0 lower and *= bpe into Cin addr
v_cndmask_b32 v140, -1, v140, s[56:57]             // LDD clip if OOB. offset
/* (d1,vc1,d0,vc0)=(6,1,3,0) */
s_mov_b32 s52, 96                                  // coordOffset0 d0=3 vc0=0
_v_add_co_u32 v4, vcc, v0, s52                     // coord0.2: coord0 += d0*sg0*VW + vc0
v_cmp_lt_u32 s[52:53], v4, s[sgprSizeI]            // coord0 < size0
v_cmp_lt_u32 s[56:57], v1, s[sgprSizeJ]            // coord1 < size1
s_and_b64 s[56:57], s[52:53], s[56:57]             // in0 && in1
_v_add_lshl_u32 v143, v2, v4, 0x0                  // scaleToBpe: accumulate d0 lower and *= bpe into Cin addr
v_cndmask_b32 v143, -1, v143, s[56:57]             // LDC clip if OOB. offset
buffer_load_ubyte v144, v143, s[sgprSrdC:sgprSrdC+3], 0, offen offset:0,  sc0 sc1 // load C for beta calc
_v_add_lshl_u32 v143, v3, v4, 0x0                  // scaleToBpe: accumulate d0 lower and *= bpe into Cin addr
v_cndmask_b32 v143, -1, v143, s[56:57]             // LDD clip if OOB. offset
/* (d1,vc1,d0,vc0)=(6,1,4,0) */
s_mov_b32 s52, 128                                 // coordOffset0 d0=4 vc0=0
_v_add_co_u32 v4, vcc, v0, s52                     // coord0.2: coord0 += d0*sg0*VW + vc0
v_cmp_lt_u32 s[52:53], v4, s[sgprSizeI]            // coord0 < size0
v_cmp_lt_u32 s[56:57], v1, s[sgprSizeJ]            // coord1 < size1
s_and_b64 s[56:57], s[52:53], s[56:57]             // in0 && in1
_v_add_lshl_u32 v146, v2, v4, 0x0                  // scaleToBpe: accumulate d0 lower and *= bpe into Cin addr
v_cndmask_b32 v146, -1, v146, s[56:57]             // LDC clip if OOB. offset
buffer_load_ubyte v147, v146, s[sgprSrdC:sgprSrdC+3], 0, offen offset:0,  sc0 sc1 // load C for beta calc
_v_add_lshl_u32 v146, v3, v4, 0x0                  // scaleToBpe: accumulate d0 lower and *= bpe into Cin addr
v_cndmask_b32 v146, -1, v146, s[56:57]             // LDD clip if OOB. offset
/* (d1,vc1,d0,vc0)=(6,1,5,0) */
s_mov_b32 s52, 160                                 // coordOffset0 d0=5 vc0=0
	;; [unrolled: 11-line block ×4, first 2 shown]
_v_add_co_u32 v4, vcc, v0, s52                     // coord0.2: coord0 += d0*sg0*VW + vc0
v_cmp_lt_u32 s[52:53], v4, s[sgprSizeI]            // coord0 < size0
v_cmp_lt_u32 s[56:57], v1, s[sgprSizeJ]            // coord1 < size1
s_and_b64 s[56:57], s[52:53], s[56:57]             // in0 && in1
_v_add_lshl_u32 v155, v2, v4, 0x0                  // scaleToBpe: accumulate d0 lower and *= bpe into Cin addr
v_cndmask_b32 v155, -1, v155, s[56:57]             // LDC clip if OOB. offset
buffer_load_ubyte v156, v155, s[sgprSrdC:sgprSrdC+3], 0, offen offset:0,  sc0 sc1 // load C for beta calc
_v_add_lshl_u32 v155, v3, v4, 0x0                  // scaleToBpe: accumulate d0 lower and *= bpe into Cin addr
v_cndmask_b32 v155, -1, v155, s[56:57]             // LDD clip if OOB. offset
/* (d1,vc1,d0,vc0)=(6,2,0,0) */
_v_add_co_u32 v1, vcc, v1, 1                       // coord1.1: coord1Vgpr += d1*sg1*VW + vc1

/* Fix for UseInitialStridesCD, emitAddressSetupCode */
_v_add_u32 v2, v2, s[sgprStrideC1J]                // ROWINC- Move cinRowPtr to next row
_v_add_u32 v3, v3, s[sgprStrideD1J]                // Move coutRowPtr to next row
v_cmp_lt_u32 s[52:53], v0, s[sgprSizeI]            // coord0 < size0
v_cmp_lt_u32 s[56:57], v1, s[sgprSizeJ]            // coord1 < size1
s_and_b64 s[56:57], s[52:53], s[56:57]             // in0 && in1
_v_add_lshl_u32 v158, v2, v0, 0x0                  // scaleToBpe: accumulate d0 lower and *= bpe into Cin addr
v_cndmask_b32 v158, -1, v158, s[56:57]             // LDC clip if OOB. offset
buffer_load_ubyte v159, v158, s[sgprSrdC:sgprSrdC+3], 0, offen offset:0,  sc0 sc1 // load C for beta calc
_v_add_lshl_u32 v158, v3, v0, 0x0                  // scaleToBpe: accumulate d0 lower and *= bpe into Cin addr
v_cndmask_b32 v158, -1, v158, s[56:57]             // LDD clip if OOB. offset
/* (d1,vc1,d0,vc0)=(6,2,1,0) */
_v_add_co_u32 v4, vcc, v0, 32                      // coord0.1: coord0 += d0*sg0*VW + vc0
v_cmp_lt_u32 s[52:53], v4, s[sgprSizeI]            // coord0 < size0
v_cmp_lt_u32 s[56:57], v1, s[sgprSizeJ]            // coord1 < size1
s_and_b64 s[56:57], s[52:53], s[56:57]             // in0 && in1
_v_add_lshl_u32 v161, v2, v4, 0x0                  // scaleToBpe: accumulate d0 lower and *= bpe into Cin addr
v_cndmask_b32 v161, -1, v161, s[56:57]             // LDC clip if OOB. offset
buffer_load_ubyte v162, v161, s[sgprSrdC:sgprSrdC+3], 0, offen offset:0,  sc0 sc1 // load C for beta calc
_v_add_lshl_u32 v161, v3, v4, 0x0                  // scaleToBpe: accumulate d0 lower and *= bpe into Cin addr
v_cndmask_b32 v161, -1, v161, s[56:57]             // LDD clip if OOB. offset
/* (d1,vc1,d0,vc0)=(6,2,2,0) */
_v_add_co_u32 v4, vcc, v0, 64                      // coord0.1: coord0 += d0*sg0*VW + vc0
v_cmp_lt_u32 s[52:53], v4, s[sgprSizeI]            // coord0 < size0
v_cmp_lt_u32 s[56:57], v1, s[sgprSizeJ]            // coord1 < size1
s_and_b64 s[56:57], s[52:53], s[56:57]             // in0 && in1
_v_add_lshl_u32 v164, v2, v4, 0x0                  // scaleToBpe: accumulate d0 lower and *= bpe into Cin addr
v_cndmask_b32 v164, -1, v164, s[56:57]             // LDC clip if OOB. offset
buffer_load_ubyte v165, v164, s[sgprSrdC:sgprSrdC+3], 0, offen offset:0,  sc0 sc1 // load C for beta calc
_v_add_lshl_u32 v164, v3, v4, 0x0                  // scaleToBpe: accumulate d0 lower and *= bpe into Cin addr
v_cndmask_b32 v164, -1, v164, s[56:57]             // LDD clip if OOB. offset
/* (d1,vc1,d0,vc0)=(6,2,3,0) */
s_mov_b32 s52, 96                                  // coordOffset0 d0=3 vc0=0
_v_add_co_u32 v4, vcc, v0, s52                     // coord0.2: coord0 += d0*sg0*VW + vc0
v_cmp_lt_u32 s[52:53], v4, s[sgprSizeI]            // coord0 < size0
v_cmp_lt_u32 s[56:57], v1, s[sgprSizeJ]            // coord1 < size1
s_and_b64 s[56:57], s[52:53], s[56:57]             // in0 && in1
_v_add_lshl_u32 v167, v2, v4, 0x0                  // scaleToBpe: accumulate d0 lower and *= bpe into Cin addr
v_cndmask_b32 v167, -1, v167, s[56:57]             // LDC clip if OOB. offset
buffer_load_ubyte v168, v167, s[sgprSrdC:sgprSrdC+3], 0, offen offset:0,  sc0 sc1 // load C for beta calc
_v_add_lshl_u32 v167, v3, v4, 0x0                  // scaleToBpe: accumulate d0 lower and *= bpe into Cin addr
v_cndmask_b32 v167, -1, v167, s[56:57]             // LDD clip if OOB. offset
/* (d1,vc1,d0,vc0)=(6,2,4,0) */
s_mov_b32 s52, 128                                 // coordOffset0 d0=4 vc0=0
_v_add_co_u32 v4, vcc, v0, s52                     // coord0.2: coord0 += d0*sg0*VW + vc0
v_cmp_lt_u32 s[52:53], v4, s[sgprSizeI]            // coord0 < size0
v_cmp_lt_u32 s[56:57], v1, s[sgprSizeJ]            // coord1 < size1
s_and_b64 s[56:57], s[52:53], s[56:57]             // in0 && in1
_v_add_lshl_u32 v170, v2, v4, 0x0                  // scaleToBpe: accumulate d0 lower and *= bpe into Cin addr
v_cndmask_b32 v170, -1, v170, s[56:57]             // LDC clip if OOB. offset
buffer_load_ubyte v171, v170, s[sgprSrdC:sgprSrdC+3], 0, offen offset:0,  sc0 sc1 // load C for beta calc
_v_add_lshl_u32 v170, v3, v4, 0x0                  // scaleToBpe: accumulate d0 lower and *= bpe into Cin addr
v_cndmask_b32 v170, -1, v170, s[56:57]             // LDD clip if OOB. offset
/* (d1,vc1,d0,vc0)=(6,2,5,0) */
s_mov_b32 s52, 160                                 // coordOffset0 d0=5 vc0=0
	;; [unrolled: 11-line block ×4, first 2 shown]
_v_add_co_u32 v4, vcc, v0, s52                     // coord0.2: coord0 += d0*sg0*VW + vc0
v_cmp_lt_u32 s[52:53], v4, s[sgprSizeI]            // coord0 < size0
v_cmp_lt_u32 s[56:57], v1, s[sgprSizeJ]            // coord1 < size1
s_and_b64 s[56:57], s[52:53], s[56:57]             // in0 && in1
_v_add_lshl_u32 v179, v2, v4, 0x0                  // scaleToBpe: accumulate d0 lower and *= bpe into Cin addr
v_cndmask_b32 v179, -1, v179, s[56:57]             // LDC clip if OOB. offset
buffer_load_ubyte v180, v179, s[sgprSrdC:sgprSrdC+3], 0, offen offset:0,  sc0 sc1 // load C for beta calc
_v_add_lshl_u32 v179, v3, v4, 0x0                  // scaleToBpe: accumulate d0 lower and *= bpe into Cin addr
v_cndmask_b32 v179, -1, v179, s[56:57]             // LDD clip if OOB. offset
/* (d1,vc1,d0,vc0)=(6,3,0,0) */
_v_add_co_u32 v1, vcc, v1, 1                       // coord1.1: coord1Vgpr += d1*sg1*VW + vc1

/* Fix for UseInitialStridesCD, emitAddressSetupCode */
_v_add_u32 v2, v2, s[sgprStrideC1J]                // ROWINC- Move cinRowPtr to next row
_v_add_u32 v3, v3, s[sgprStrideD1J]                // Move coutRowPtr to next row
v_cmp_lt_u32 s[52:53], v0, s[sgprSizeI]            // coord0 < size0
v_cmp_lt_u32 s[56:57], v1, s[sgprSizeJ]            // coord1 < size1
s_and_b64 s[56:57], s[52:53], s[56:57]             // in0 && in1
_v_add_lshl_u32 v182, v2, v0, 0x0                  // scaleToBpe: accumulate d0 lower and *= bpe into Cin addr
v_cndmask_b32 v182, -1, v182, s[56:57]             // LDC clip if OOB. offset
buffer_load_ubyte v183, v182, s[sgprSrdC:sgprSrdC+3], 0, offen offset:0,  sc0 sc1 // load C for beta calc
_v_add_lshl_u32 v182, v3, v0, 0x0                  // scaleToBpe: accumulate d0 lower and *= bpe into Cin addr
v_cndmask_b32 v182, -1, v182, s[56:57]             // LDD clip if OOB. offset
/* (d1,vc1,d0,vc0)=(6,3,1,0) */
_v_add_co_u32 v4, vcc, v0, 32                      // coord0.1: coord0 += d0*sg0*VW + vc0
v_cmp_lt_u32 s[52:53], v4, s[sgprSizeI]            // coord0 < size0
v_cmp_lt_u32 s[56:57], v1, s[sgprSizeJ]            // coord1 < size1
s_and_b64 s[56:57], s[52:53], s[56:57]             // in0 && in1
_v_add_lshl_u32 v185, v2, v4, 0x0                  // scaleToBpe: accumulate d0 lower and *= bpe into Cin addr
v_cndmask_b32 v185, -1, v185, s[56:57]             // LDC clip if OOB. offset
buffer_load_ubyte v186, v185, s[sgprSrdC:sgprSrdC+3], 0, offen offset:0,  sc0 sc1 // load C for beta calc
_v_add_lshl_u32 v185, v3, v4, 0x0                  // scaleToBpe: accumulate d0 lower and *= bpe into Cin addr
v_cndmask_b32 v185, -1, v185, s[56:57]             // LDD clip if OOB. offset
/* (d1,vc1,d0,vc0)=(6,3,2,0) */
_v_add_co_u32 v4, vcc, v0, 64                      // coord0.1: coord0 += d0*sg0*VW + vc0
v_cmp_lt_u32 s[52:53], v4, s[sgprSizeI]            // coord0 < size0
v_cmp_lt_u32 s[56:57], v1, s[sgprSizeJ]            // coord1 < size1
s_and_b64 s[56:57], s[52:53], s[56:57]             // in0 && in1
_v_add_lshl_u32 v188, v2, v4, 0x0                  // scaleToBpe: accumulate d0 lower and *= bpe into Cin addr
v_cndmask_b32 v188, -1, v188, s[56:57]             // LDC clip if OOB. offset
buffer_load_ubyte v189, v188, s[sgprSrdC:sgprSrdC+3], 0, offen offset:0,  sc0 sc1 // load C for beta calc
_v_add_lshl_u32 v188, v3, v4, 0x0                  // scaleToBpe: accumulate d0 lower and *= bpe into Cin addr
v_cndmask_b32 v188, -1, v188, s[56:57]             // LDD clip if OOB. offset
/* (d1,vc1,d0,vc0)=(6,3,3,0) */
s_mov_b32 s52, 96                                  // coordOffset0 d0=3 vc0=0
_v_add_co_u32 v4, vcc, v0, s52                     // coord0.2: coord0 += d0*sg0*VW + vc0
v_cmp_lt_u32 s[52:53], v4, s[sgprSizeI]            // coord0 < size0
v_cmp_lt_u32 s[56:57], v1, s[sgprSizeJ]            // coord1 < size1
s_and_b64 s[56:57], s[52:53], s[56:57]             // in0 && in1
_v_add_lshl_u32 v191, v2, v4, 0x0                  // scaleToBpe: accumulate d0 lower and *= bpe into Cin addr
v_cndmask_b32 v191, -1, v191, s[56:57]             // LDC clip if OOB. offset
buffer_load_ubyte v192, v191, s[sgprSrdC:sgprSrdC+3], 0, offen offset:0,  sc0 sc1 // load C for beta calc
_v_add_lshl_u32 v191, v3, v4, 0x0                  // scaleToBpe: accumulate d0 lower and *= bpe into Cin addr
v_cndmask_b32 v191, -1, v191, s[56:57]             // LDD clip if OOB. offset
/* (d1,vc1,d0,vc0)=(6,3,4,0) */
s_mov_b32 s52, 128                                 // coordOffset0 d0=4 vc0=0
_v_add_co_u32 v4, vcc, v0, s52                     // coord0.2: coord0 += d0*sg0*VW + vc0
v_cmp_lt_u32 s[52:53], v4, s[sgprSizeI]            // coord0 < size0
v_cmp_lt_u32 s[56:57], v1, s[sgprSizeJ]            // coord1 < size1
s_and_b64 s[56:57], s[52:53], s[56:57]             // in0 && in1
_v_add_lshl_u32 v194, v2, v4, 0x0                  // scaleToBpe: accumulate d0 lower and *= bpe into Cin addr
v_cndmask_b32 v194, -1, v194, s[56:57]             // LDC clip if OOB. offset
buffer_load_ubyte v195, v194, s[sgprSrdC:sgprSrdC+3], 0, offen offset:0,  sc0 sc1 // load C for beta calc
_v_add_lshl_u32 v194, v3, v4, 0x0                  // scaleToBpe: accumulate d0 lower and *= bpe into Cin addr
v_cndmask_b32 v194, -1, v194, s[56:57]             // LDD clip if OOB. offset
/* (d1,vc1,d0,vc0)=(6,3,5,0) */
s_mov_b32 s52, 160                                 // coordOffset0 d0=5 vc0=0
	;; [unrolled: 11-line block ×4, first 2 shown]
_v_add_co_u32 v4, vcc, v0, s52                     // coord0.2: coord0 += d0*sg0*VW + vc0
v_cmp_lt_u32 s[52:53], v4, s[sgprSizeI]            // coord0 < size0
v_cmp_lt_u32 s[56:57], v1, s[sgprSizeJ]            // coord1 < size1
s_and_b64 s[56:57], s[52:53], s[56:57]             // in0 && in1
_v_add_lshl_u32 v203, v2, v4, 0x0                  // scaleToBpe: accumulate d0 lower and *= bpe into Cin addr
v_cndmask_b32 v203, -1, v203, s[56:57]             // LDC clip if OOB. offset
buffer_load_ubyte v204, v203, s[sgprSrdC:sgprSrdC+3], 0, offen offset:0,  sc0 sc1 // load C for beta calc
_v_add_lshl_u32 v203, v3, v4, 0x0                  // scaleToBpe: accumulate d0 lower and *= bpe into Cin addr
v_cndmask_b32 v203, -1, v203, s[56:57]             // LDD clip if OOB. offset
/* (d1,vc1,d0,vc0)=(7,0,0,0) */
_v_add_co_u32 v1, vcc, v1, 5                       // coord1.1: coord1Vgpr += d1*sg1*VW + vc1

/* Fix for UseInitialStridesCD, emitAddressSetupCode */
s_mul_i32 s52, s[sgprStrideC1J], 5                 // scale stride
_v_add_u32 v2, v2, s52                             // ROWINC- Move cinRowPtr to next row
s_mul_i32 s52, s[sgprStrideD1J], 5                 // scale stride
_v_add_u32 v3, v3, s52                             // Move coutRowPtr to next row
v_cmp_lt_u32 s[52:53], v0, s[sgprSizeI]            // coord0 < size0
v_cmp_lt_u32 s[56:57], v1, s[sgprSizeJ]            // coord1 < size1
s_and_b64 s[56:57], s[52:53], s[56:57]             // in0 && in1
_v_add_lshl_u32 v206, v2, v0, 0x0                  // scaleToBpe: accumulate d0 lower and *= bpe into Cin addr
v_cndmask_b32 v206, -1, v206, s[56:57]             // LDC clip if OOB. offset
buffer_load_ubyte v207, v206, s[sgprSrdC:sgprSrdC+3], 0, offen offset:0,  sc0 sc1 // load C for beta calc
_v_add_lshl_u32 v206, v3, v0, 0x0                  // scaleToBpe: accumulate d0 lower and *= bpe into Cin addr
v_cndmask_b32 v206, -1, v206, s[56:57]             // LDD clip if OOB. offset
/* (d1,vc1,d0,vc0)=(7,0,1,0) */
_v_add_co_u32 v4, vcc, v0, 32                      // coord0.1: coord0 += d0*sg0*VW + vc0
v_cmp_lt_u32 s[52:53], v4, s[sgprSizeI]            // coord0 < size0
v_cmp_lt_u32 s[56:57], v1, s[sgprSizeJ]            // coord1 < size1
s_and_b64 s[56:57], s[52:53], s[56:57]             // in0 && in1
_v_add_lshl_u32 v209, v2, v4, 0x0                  // scaleToBpe: accumulate d0 lower and *= bpe into Cin addr
v_cndmask_b32 v209, -1, v209, s[56:57]             // LDC clip if OOB. offset
buffer_load_ubyte v210, v209, s[sgprSrdC:sgprSrdC+3], 0, offen offset:0,  sc0 sc1 // load C for beta calc
_v_add_lshl_u32 v209, v3, v4, 0x0                  // scaleToBpe: accumulate d0 lower and *= bpe into Cin addr
v_cndmask_b32 v209, -1, v209, s[56:57]             // LDD clip if OOB. offset
/* (d1,vc1,d0,vc0)=(7,0,2,0) */
_v_add_co_u32 v4, vcc, v0, 64                      // coord0.1: coord0 += d0*sg0*VW + vc0
v_cmp_lt_u32 s[52:53], v4, s[sgprSizeI]            // coord0 < size0
v_cmp_lt_u32 s[56:57], v1, s[sgprSizeJ]            // coord1 < size1
s_and_b64 s[56:57], s[52:53], s[56:57]             // in0 && in1
_v_add_lshl_u32 v212, v2, v4, 0x0                  // scaleToBpe: accumulate d0 lower and *= bpe into Cin addr
v_cndmask_b32 v212, -1, v212, s[56:57]             // LDC clip if OOB. offset
buffer_load_ubyte v213, v212, s[sgprSrdC:sgprSrdC+3], 0, offen offset:0,  sc0 sc1 // load C for beta calc
_v_add_lshl_u32 v212, v3, v4, 0x0                  // scaleToBpe: accumulate d0 lower and *= bpe into Cin addr
v_cndmask_b32 v212, -1, v212, s[56:57]             // LDD clip if OOB. offset
/* (d1,vc1,d0,vc0)=(7,0,3,0) */
s_mov_b32 s52, 96                                  // coordOffset0 d0=3 vc0=0
_v_add_co_u32 v4, vcc, v0, s52                     // coord0.2: coord0 += d0*sg0*VW + vc0
v_cmp_lt_u32 s[52:53], v4, s[sgprSizeI]            // coord0 < size0
v_cmp_lt_u32 s[56:57], v1, s[sgprSizeJ]            // coord1 < size1
s_and_b64 s[56:57], s[52:53], s[56:57]             // in0 && in1
_v_add_lshl_u32 v215, v2, v4, 0x0                  // scaleToBpe: accumulate d0 lower and *= bpe into Cin addr
v_cndmask_b32 v215, -1, v215, s[56:57]             // LDC clip if OOB. offset
buffer_load_ubyte v216, v215, s[sgprSrdC:sgprSrdC+3], 0, offen offset:0,  sc0 sc1 // load C for beta calc
_v_add_lshl_u32 v215, v3, v4, 0x0                  // scaleToBpe: accumulate d0 lower and *= bpe into Cin addr
v_cndmask_b32 v215, -1, v215, s[56:57]             // LDD clip if OOB. offset
/* (d1,vc1,d0,vc0)=(7,0,4,0) */
s_mov_b32 s52, 128                                 // coordOffset0 d0=4 vc0=0
_v_add_co_u32 v4, vcc, v0, s52                     // coord0.2: coord0 += d0*sg0*VW + vc0
v_cmp_lt_u32 s[52:53], v4, s[sgprSizeI]            // coord0 < size0
v_cmp_lt_u32 s[56:57], v1, s[sgprSizeJ]            // coord1 < size1
s_and_b64 s[56:57], s[52:53], s[56:57]             // in0 && in1
_v_add_lshl_u32 v218, v2, v4, 0x0                  // scaleToBpe: accumulate d0 lower and *= bpe into Cin addr
v_cndmask_b32 v218, -1, v218, s[56:57]             // LDC clip if OOB. offset
buffer_load_ubyte v219, v218, s[sgprSrdC:sgprSrdC+3], 0, offen offset:0,  sc0 sc1 // load C for beta calc
_v_add_lshl_u32 v218, v3, v4, 0x0                  // scaleToBpe: accumulate d0 lower and *= bpe into Cin addr
v_cndmask_b32 v218, -1, v218, s[56:57]             // LDD clip if OOB. offset
/* (d1,vc1,d0,vc0)=(7,0,5,0) */
s_mov_b32 s52, 160                                 // coordOffset0 d0=5 vc0=0
	;; [unrolled: 11-line block ×4, first 2 shown]
_v_add_co_u32 v4, vcc, v0, s52                     // coord0.2: coord0 += d0*sg0*VW + vc0
v_cmp_lt_u32 s[52:53], v4, s[sgprSizeI]            // coord0 < size0
v_cmp_lt_u32 s[56:57], v1, s[sgprSizeJ]            // coord1 < size1
s_and_b64 s[56:57], s[52:53], s[56:57]             // in0 && in1
_v_add_lshl_u32 v227, v2, v4, 0x0                  // scaleToBpe: accumulate d0 lower and *= bpe into Cin addr
v_cndmask_b32 v227, -1, v227, s[56:57]             // LDC clip if OOB. offset
buffer_load_ubyte v228, v227, s[sgprSrdC:sgprSrdC+3], 0, offen offset:0,  sc0 sc1 // load C for beta calc
_v_add_lshl_u32 v227, v3, v4, 0x0                  // scaleToBpe: accumulate d0 lower and *= bpe into Cin addr
v_cndmask_b32 v227, -1, v227, s[56:57]             // LDD clip if OOB. offset
/* (d1,vc1,d0,vc0)=(7,1,0,0) */
_v_add_co_u32 v1, vcc, v1, 1                       // coord1.1: coord1Vgpr += d1*sg1*VW + vc1

/* Fix for UseInitialStridesCD, emitAddressSetupCode */
_v_add_u32 v2, v2, s[sgprStrideC1J]                // ROWINC- Move cinRowPtr to next row
_v_add_u32 v3, v3, s[sgprStrideD1J]                // Move coutRowPtr to next row
v_cmp_lt_u32 s[52:53], v0, s[sgprSizeI]            // coord0 < size0
v_cmp_lt_u32 s[56:57], v1, s[sgprSizeJ]            // coord1 < size1
s_and_b64 s[56:57], s[52:53], s[56:57]             // in0 && in1
_v_add_lshl_u32 v230, v2, v0, 0x0                  // scaleToBpe: accumulate d0 lower and *= bpe into Cin addr
v_cndmask_b32 v230, -1, v230, s[56:57]             // LDC clip if OOB. offset
buffer_load_ubyte v231, v230, s[sgprSrdC:sgprSrdC+3], 0, offen offset:0,  sc0 sc1 // load C for beta calc
_v_add_lshl_u32 v230, v3, v0, 0x0                  // scaleToBpe: accumulate d0 lower and *= bpe into Cin addr
v_cndmask_b32 v230, -1, v230, s[56:57]             // LDD clip if OOB. offset
/* (d1,vc1,d0,vc0)=(7,1,1,0) */
_v_add_co_u32 v4, vcc, v0, 32                      // coord0.1: coord0 += d0*sg0*VW + vc0
v_cmp_lt_u32 s[52:53], v4, s[sgprSizeI]            // coord0 < size0
v_cmp_lt_u32 s[56:57], v1, s[sgprSizeJ]            // coord1 < size1
s_and_b64 s[56:57], s[52:53], s[56:57]             // in0 && in1
_v_add_lshl_u32 v233, v2, v4, 0x0                  // scaleToBpe: accumulate d0 lower and *= bpe into Cin addr
v_cndmask_b32 v233, -1, v233, s[56:57]             // LDC clip if OOB. offset
buffer_load_ubyte v234, v233, s[sgprSrdC:sgprSrdC+3], 0, offen offset:0,  sc0 sc1 // load C for beta calc
_v_add_lshl_u32 v233, v3, v4, 0x0                  // scaleToBpe: accumulate d0 lower and *= bpe into Cin addr
v_cndmask_b32 v233, -1, v233, s[56:57]             // LDD clip if OOB. offset
/* (d1,vc1,d0,vc0)=(7,1,2,0) */
_v_add_co_u32 v4, vcc, v0, 64                      // coord0.1: coord0 += d0*sg0*VW + vc0
v_cmp_lt_u32 s[52:53], v4, s[sgprSizeI]            // coord0 < size0
v_cmp_lt_u32 s[56:57], v1, s[sgprSizeJ]            // coord1 < size1
s_and_b64 s[56:57], s[52:53], s[56:57]             // in0 && in1
_v_add_lshl_u32 v236, v2, v4, 0x0                  // scaleToBpe: accumulate d0 lower and *= bpe into Cin addr
v_cndmask_b32 v236, -1, v236, s[56:57]             // LDC clip if OOB. offset
buffer_load_ubyte v237, v236, s[sgprSrdC:sgprSrdC+3], 0, offen offset:0,  sc0 sc1 // load C for beta calc
_v_add_lshl_u32 v236, v3, v4, 0x0                  // scaleToBpe: accumulate d0 lower and *= bpe into Cin addr
v_cndmask_b32 v236, -1, v236, s[56:57]             // LDD clip if OOB. offset
/* (d1,vc1,d0,vc0)=(7,1,3,0) */
s_mov_b32 s52, 96                                  // coordOffset0 d0=3 vc0=0
_v_add_co_u32 v4, vcc, v0, s52                     // coord0.2: coord0 += d0*sg0*VW + vc0
v_cmp_lt_u32 s[52:53], v4, s[sgprSizeI]            // coord0 < size0
v_cmp_lt_u32 s[56:57], v1, s[sgprSizeJ]            // coord1 < size1
s_and_b64 s[56:57], s[52:53], s[56:57]             // in0 && in1
_v_add_lshl_u32 v239, v2, v4, 0x0                  // scaleToBpe: accumulate d0 lower and *= bpe into Cin addr
v_cndmask_b32 v239, -1, v239, s[56:57]             // LDC clip if OOB. offset
buffer_load_ubyte v240, v239, s[sgprSrdC:sgprSrdC+3], 0, offen offset:0,  sc0 sc1 // load C for beta calc
_v_add_lshl_u32 v239, v3, v4, 0x0                  // scaleToBpe: accumulate d0 lower and *= bpe into Cin addr
v_cndmask_b32 v239, -1, v239, s[56:57]             // LDD clip if OOB. offset
/* (d1,vc1,d0,vc0)=(7,1,4,0) */
s_mov_b32 s52, 128                                 // coordOffset0 d0=4 vc0=0
_v_add_co_u32 v4, vcc, v0, s52                     // coord0.2: coord0 += d0*sg0*VW + vc0
v_cmp_lt_u32 s[52:53], v4, s[sgprSizeI]            // coord0 < size0
v_cmp_lt_u32 s[56:57], v1, s[sgprSizeJ]            // coord1 < size1
s_and_b64 s[56:57], s[52:53], s[56:57]             // in0 && in1
_v_add_lshl_u32 v242, v2, v4, 0x0                  // scaleToBpe: accumulate d0 lower and *= bpe into Cin addr
v_cndmask_b32 v242, -1, v242, s[56:57]             // LDC clip if OOB. offset
buffer_load_ubyte v243, v242, s[sgprSrdC:sgprSrdC+3], 0, offen offset:0,  sc0 sc1 // load C for beta calc
_v_add_lshl_u32 v242, v3, v4, 0x0                  // scaleToBpe: accumulate d0 lower and *= bpe into Cin addr
v_cndmask_b32 v242, -1, v242, s[56:57]             // LDD clip if OOB. offset
/* (d1,vc1,d0,vc0)=(7,1,5,0) */
s_mov_b32 s52, 160                                 // coordOffset0 d0=5 vc0=0
	;; [unrolled: 11-line block ×4, first 2 shown]
_v_add_co_u32 v4, vcc, v0, s52                     // coord0.2: coord0 += d0*sg0*VW + vc0
v_cmp_lt_u32 s[52:53], v4, s[sgprSizeI]            // coord0 < size0
v_cmp_lt_u32 s[56:57], v1, s[sgprSizeJ]            // coord1 < size1
s_and_b64 s[56:57], s[52:53], s[56:57]             // in0 && in1
_v_add_lshl_u32 v251, v2, v4, 0x0                  // scaleToBpe: accumulate d0 lower and *= bpe into Cin addr
v_cndmask_b32 v251, -1, v251, s[56:57]             // LDC clip if OOB. offset
buffer_load_ubyte v252, v251, s[sgprSrdC:sgprSrdC+3], 0, offen offset:0,  sc0 sc1 // load C for beta calc
_v_add_lshl_u32 v251, v3, v4, 0x0                  // scaleToBpe: accumulate d0 lower and *= bpe into Cin addr
v_cndmask_b32 v251, -1, v251, s[56:57]             // LDD clip if OOB. offset
s_sleep 3 // optimization: sync and wait
s_barrier
v_accvgpr_read_b32 v[vgprValuC+13], acc132 // copy acc to vreg[160]
v_accvgpr_read_b32 v[vgprValuC+16], acc148 // copy acc to vreg[161]
v_accvgpr_read_b32 v[vgprValuC+19], acc164 // copy acc to vreg[162]
v_accvgpr_read_b32 v[vgprValuC+22], acc180 // copy acc to vreg[163]
v_accvgpr_read_b32 v[vgprValuC+25], acc196 // copy acc to vreg[164]
v_accvgpr_read_b32 v[vgprValuC+28], acc212 // copy acc to vreg[165]
v_accvgpr_read_b32 v[vgprValuC+31], acc228 // copy acc to vreg[166]
v_accvgpr_read_b32 v[vgprValuC+34], acc244 // copy acc to vreg[167]
v_accvgpr_read_b32 v[vgprValuC+37], acc133 // copy acc to vreg[168]
v_accvgpr_read_b32 v[vgprValuC+40], acc149 // copy acc to vreg[169]
v_accvgpr_read_b32 v[vgprValuC+43], acc165 // copy acc to vreg[170]
v_accvgpr_read_b32 v[vgprValuC+46], acc181 // copy acc to vreg[171]
v_accvgpr_read_b32 v[vgprValuC+49], acc197 // copy acc to vreg[172]
v_accvgpr_read_b32 v[vgprValuC+52], acc213 // copy acc to vreg[173]
v_accvgpr_read_b32 v[vgprValuC+55], acc229 // copy acc to vreg[174]
v_accvgpr_read_b32 v[vgprValuC+58], acc245 // copy acc to vreg[175]
v_accvgpr_read_b32 v[vgprValuC+61], acc134 // copy acc to vreg[176]
v_accvgpr_read_b32 v[vgprValuC+64], acc150 // copy acc to vreg[177]
v_accvgpr_read_b32 v[vgprValuC+67], acc166 // copy acc to vreg[178]
v_accvgpr_read_b32 v[vgprValuC+70], acc182 // copy acc to vreg[179]
v_accvgpr_read_b32 v[vgprValuC+73], acc198 // copy acc to vreg[180]
v_accvgpr_read_b32 v[vgprValuC+76], acc214 // copy acc to vreg[181]
v_accvgpr_read_b32 v[vgprValuC+79], acc230 // copy acc to vreg[182]
v_accvgpr_read_b32 v[vgprValuC+82], acc246 // copy acc to vreg[183]
v_accvgpr_read_b32 v[vgprValuC+85], acc135 // copy acc to vreg[184]
v_accvgpr_read_b32 v[vgprValuC+88], acc151 // copy acc to vreg[185]
v_accvgpr_read_b32 v[vgprValuC+91], acc167 // copy acc to vreg[186]
v_accvgpr_read_b32 v[vgprValuC+94], acc183 // copy acc to vreg[187]
v_accvgpr_read_b32 v[vgprValuC+97], acc199 // copy acc to vreg[188]
v_accvgpr_read_b32 v[vgprValuC+100], acc215 // copy acc to vreg[189]
v_accvgpr_read_b32 v[vgprValuC+103], acc231 // copy acc to vreg[190]
v_accvgpr_read_b32 v[vgprValuC+106], acc247 // copy acc to vreg[191]
v_accvgpr_read_b32 v[vgprValuC+109], acc136 // copy acc to vreg[192]
v_accvgpr_read_b32 v[vgprValuC+112], acc152 // copy acc to vreg[193]
v_accvgpr_read_b32 v[vgprValuC+115], acc168 // copy acc to vreg[194]
v_accvgpr_read_b32 v[vgprValuC+121], acc184 // copy acc to vreg[195]
v_accvgpr_read_b32 v[vgprValuC+124], acc200 // copy acc to vreg[196]
v_accvgpr_read_b32 v[vgprValuC+127], acc216 // copy acc to vreg[197]
v_accvgpr_read_b32 v[vgprValuC+130], acc232 // copy acc to vreg[198]
v_accvgpr_read_b32 v[vgprValuC+133], acc248 // copy acc to vreg[199]
v_accvgpr_read_b32 v[vgprValuC+136], acc137 // copy acc to vreg[200]
v_accvgpr_read_b32 v[vgprValuC+139], acc153 // copy acc to vreg[201]
v_accvgpr_read_b32 v[vgprValuC+142], acc169 // copy acc to vreg[202]
v_accvgpr_read_b32 v[vgprValuC+145], acc185 // copy acc to vreg[203]
v_accvgpr_read_b32 v[vgprValuC+148], acc201 // copy acc to vreg[204]
v_accvgpr_read_b32 v[vgprValuC+151], acc217 // copy acc to vreg[205]
v_accvgpr_read_b32 v[vgprValuC+154], acc233 // copy acc to vreg[206]
v_accvgpr_read_b32 v[vgprValuC+157], acc249 // copy acc to vreg[207]
v_accvgpr_read_b32 v[vgprValuC+160], acc138 // copy acc to vreg[208]
v_accvgpr_read_b32 v[vgprValuC+163], acc154 // copy acc to vreg[209]
v_accvgpr_read_b32 v[vgprValuC+166], acc170 // copy acc to vreg[210]
v_accvgpr_read_b32 v[vgprValuC+169], acc186 // copy acc to vreg[211]
v_accvgpr_read_b32 v[vgprValuC+172], acc202 // copy acc to vreg[212]
v_accvgpr_read_b32 v[vgprValuC+175], acc218 // copy acc to vreg[213]
v_accvgpr_read_b32 v[vgprValuC+178], acc234 // copy acc to vreg[214]
v_accvgpr_read_b32 v[vgprValuC+181], acc250 // copy acc to vreg[215]
v_accvgpr_read_b32 v[vgprValuC+184], acc139 // copy acc to vreg[216]
v_accvgpr_read_b32 v[vgprValuC+187], acc155 // copy acc to vreg[217]
v_accvgpr_read_b32 v[vgprValuC+190], acc171 // copy acc to vreg[218]
v_accvgpr_read_b32 v[vgprValuC+193], acc187 // copy acc to vreg[219]
v_accvgpr_read_b32 v[vgprValuC+196], acc203 // copy acc to vreg[220]
v_accvgpr_read_b32 v[vgprValuC+199], acc219 // copy acc to vreg[221]
v_accvgpr_read_b32 v[vgprValuC+202], acc235 // copy acc to vreg[222]
v_accvgpr_read_b32 v[vgprValuC+205], acc251 // copy acc to vreg[223]
v_accvgpr_read_b32 v[vgprValuC+208], acc140 // copy acc to vreg[224]
v_accvgpr_read_b32 v[vgprValuC+211], acc156 // copy acc to vreg[225]
v_accvgpr_read_b32 v[vgprValuC+214], acc172 // copy acc to vreg[226]
v_accvgpr_read_b32 v[vgprValuC+217], acc188 // copy acc to vreg[227]
v_accvgpr_read_b32 v[vgprValuC+220], acc204 // copy acc to vreg[228]
v_accvgpr_read_b32 v[vgprValuC+223], acc220 // copy acc to vreg[229]
v_accvgpr_read_b32 v[vgprValuC+226], acc236 // copy acc to vreg[230]
v_accvgpr_read_b32 v[vgprValuC+229], acc252 // copy acc to vreg[231]
v_accvgpr_read_b32 v[vgprValuC+232], acc141 // copy acc to vreg[232]
v_accvgpr_read_b32 v[vgprValuC+235], acc157 // copy acc to vreg[233]
v_accvgpr_read_b32 v[vgprValuC+238], acc173 // copy acc to vreg[234]
v_accvgpr_read_b32 v[vgprValuC+241], acc189 // copy acc to vreg[235]
v_accvgpr_read_b32 v[vgprValuC+244], acc205 // copy acc to vreg[236]
v_accvgpr_read_b32 v[vgprValuC+247], acc221 // copy acc to vreg[237]
v_accvgpr_read_b32 v[vgprValuC+250], acc237 // copy acc to vreg[238]
v_accvgpr_read_b32 v[vgprValuC+253], acc253 // copy acc to vreg[239]
s_nop 1                                            // 2 wait states required before reading vgpr

/* rC *= alpha batchElements=[(5, 0, 0, 0), (5, 1, 0, 0), (5, 2, 0, 0), (5, 3, 0, 0), (5, 4, 0, 0), (5, 5, 0, 0), (5, 6, 0, 0), (5, 7, 0, 0), (5, 0, 1, 0), (5, 1, 1, 0), (5, 2, 1, 0), (5, 3, 1, 0), (5, 4, 1, 0), (5, 5, 1, 0), (5, 6, 1, 0), (5, 7, 1, 0), (5, 0, 2, 0), (5, 1, 2, 0), (5, 2, 2, 0), (5, 3, 2, 0), (5, 4, 2, 0), (5, 5, 2, 0), (5, 6, 2, 0), (5, 7, 2, 0), (5, 0, 3, 0), (5, 1, 3, 0), (5, 2, 3, 0), (5, 3, 3, 0), (5, 4, 3, 0), (5, 5, 3, 0), (5, 6, 3, 0), (5, 7, 3, 0), (6, 0, 0, 0), (6, 1, 0, 0), (6, 2, 0, 0), (6, 3, 0, 0), (6, 4, 0, 0), (6, 5, 0, 0), (6, 6, 0, 0), (6, 7, 0, 0), (6, 0, 1, 0), (6, 1, 1, 0), (6, 2, 1, 0), (6, 3, 1, 0), (6, 4, 1, 0), (6, 5, 1, 0), (6, 6, 1, 0), (6, 7, 1, 0), (6, 0, 2, 0), (6, 1, 2, 0), (6, 2, 2, 0), (6, 3, 2, 0), (6, 4, 2, 0), (6, 5, 2, 0), (6, 6, 2, 0), (6, 7, 2, 0), (6, 0, 3, 0), (6, 1, 3, 0), (6, 2, 3, 0), (6, 3, 3, 0), (6, 4, 3, 0), (6, 5, 3, 0), (6, 6, 3, 0), (6, 7, 3, 0), (7, 0, 0, 0), (7, 1, 0, 0), (7, 2, 0, 0), (7, 3, 0, 0), (7, 4, 0, 0), (7, 5, 0, 0), (7, 6, 0, 0), (7, 7, 0, 0), (7, 0, 1, 0), (7, 1, 1, 0), (7, 2, 1, 0), (7, 3, 1, 0), (7, 4, 1, 0), (7, 5, 1, 0), (7, 6, 1, 0), (7, 7, 1, 0)] */
v_mul_f32 v[vgprValuC+13], s[sgprAlpha], v[vgprValuC+13] // *= alpha
v_mul_f32 v[vgprValuC+16], s[sgprAlpha], v[vgprValuC+16] // *= alpha
	;; [unrolled: 1-line block ×80, first 2 shown]
s_waitcnt vmcnt(0)                                 // wait C

/* apply mask, calc new C and issue writes */
v_mov_b32 v10, 0x207                               // flag for Nan and +/- inf
v_mov_b32 v8, 0x47600000                           // save 57344.0f as max for clipping
v_mov_b32 v9, 0xC7600000                           // save -57344`.0f as min for clipping
v_cvt_f32_bf8 v6, v12 src0_sel:BYTE_0   // convert bf8 in lo_byte[0] to f32
_v_mac_f32 v[vgprValuC+13], v6, s[sgprBeta]        // finalSum = sum*alpha + C*beta
v_cmp_class_f32 s[52:53], v[vgprValuC+13], v10     // check NaN and +/-INF
v_med3_f32 v6, v[vgprValuC+13], v8, v9             // Clipping f32 value if exceeds the limit
v_cndmask_b32 v6, v6, v[vgprValuC+13], s[52:53]    // 
v_cvt_pk_bf8_f32  v13, v6, v6                      // convert f32 accumulated values to fp8
buffer_store_byte v13, v11, s[sgprSrdD:sgprSrdD+3], 0, offen, offset:0,  sc0 sc1 // store D
v_cvt_f32_bf8 v6, v15 src0_sel:BYTE_0   // convert bf8 in lo_byte[0] to f32
_v_mac_f32 v[vgprValuC+16], v6, s[sgprBeta]        // finalSum = sum*alpha + C*beta
v_cmp_class_f32 s[52:53], v[vgprValuC+16], v10     // check NaN and +/-INF
v_med3_f32 v6, v[vgprValuC+16], v8, v9             // Clipping f32 value if exceeds the limit
v_cndmask_b32 v6, v6, v[vgprValuC+16], s[52:53]    // 
v_cvt_pk_bf8_f32  v16, v6, v6                      // convert f32 accumulated values to fp8
buffer_store_byte v16, v14, s[sgprSrdD:sgprSrdD+3], 0, offen, offset:0,  sc0 sc1 // store D
	;; [unrolled: 7-line block ×29, first 2 shown]
v_cvt_f32_bf8 v6, v99 src0_sel:BYTE_0   // convert bf8 in lo_byte[0] to f32
_v_mac_f32 v[vgprValuC+100], v6, s[sgprBeta]       // finalSum = sum*alpha + C*beta
v_cmp_class_f32 s[52:53], v[vgprValuC+100], v10    // check NaN and +/-INF
v_med3_f32 v6, v[vgprValuC+100], v8, v9            // Clipping f32 value if exceeds the limit
v_cndmask_b32 v6, v6, v[vgprValuC+100], s[52:53]   // 
v_cvt_pk_bf8_f32  v100, v6, v6                     // convert f32 accumulated values to fp8
buffer_store_byte v100, v98, s[sgprSrdD:sgprSrdD+3], 0, offen, offset:0,  sc0 sc1 // store D
v_cvt_f32_bf8 v6, v102 src0_sel:BYTE_0   // convert bf8 in lo_byte[0] to f32
_v_mac_f32 v[vgprValuC+103], v6, s[sgprBeta]       // finalSum = sum*alpha + C*beta
v_cmp_class_f32 s[52:53], v[vgprValuC+103], v10    // check NaN and +/-INF
v_med3_f32 v6, v[vgprValuC+103], v8, v9            // Clipping f32 value if exceeds the limit
v_cndmask_b32 v6, v6, v[vgprValuC+103], s[52:53]   // 
v_cvt_pk_bf8_f32  v103, v6, v6                     // convert f32 accumulated values to fp8
buffer_store_byte v103, v101, s[sgprSrdD:sgprSrdD+3], 0, offen, offset:0,  sc0 sc1 // store D
	;; [unrolled: 7-line block ×51, first 2 shown]
s_nop 0                                            // 1 wait state required when next inst writes vgprs held by previous dwordx4 store inst
/* optSingleColVgpr=0 optSharedColVgpr=0 optSGPRUsage=BufferLoad_Edge_Mask optSrdIncForRow=0 */
s_sleep 3 // optimization: sync and wait
s_barrier

/******************************************/
/* Global Write Alpha Beta Edge Batch #3 (d1,d0,vc1,vc0) = */
/*    (7,0,2,0:vw1); (7,1,2,0:vw1); (7,2,2,0:vw1); (7,3,2,0:vw1); (7,4,2,0:vw1); (7,5,2,0:vw1); (7,6,2,0:vw1); (7,7,2,0:vw1); (7,0,3,0:vw1); (7,1,3,0:vw1); (7,2,3,0:vw1); (7,3,3,0:vw1); (7,4,3,0:vw1); (7,5,3,0:vw1); (7,6,3,0:vw1); (7,7,3,0:vw1) */
/******************************************/

/* calc coords, apply mask, and issue loads (if necessary) */
/* (d1,vc1,d0,vc0)=(7,2,0,0) */
_v_add_co_u32 v1, vcc, v1, 1                       // coord1.1: coord1Vgpr += d1*sg1*VW + vc1

/* Fix for UseInitialStridesCD, emitAddressSetupCode */
_v_add_u32 v2, v2, s[sgprStrideC1J]                // ROWINC- Move cinRowPtr to next row
_v_add_u32 v3, v3, s[sgprStrideD1J]                // Move coutRowPtr to next row
v_cmp_lt_u32 s[52:53], v0, s[sgprSizeI]            // coord0 < size0
v_cmp_lt_u32 s[56:57], v1, s[sgprSizeJ]            // coord1 < size1
s_and_b64 s[56:57], s[52:53], s[56:57]             // in0 && in1
_v_add_lshl_u32 v11, v2, v0, 0x0                   // scaleToBpe: accumulate d0 lower and *= bpe into Cin addr
v_cndmask_b32 v11, -1, v11, s[56:57]               // LDC clip if OOB. offset
buffer_load_ubyte v12, v11, s[sgprSrdC:sgprSrdC+3], 0, offen offset:0,  sc0 sc1 // load C for beta calc
_v_add_lshl_u32 v11, v3, v0, 0x0                   // scaleToBpe: accumulate d0 lower and *= bpe into Cin addr
v_cndmask_b32 v11, -1, v11, s[56:57]               // LDD clip if OOB. offset
/* (d1,vc1,d0,vc0)=(7,2,1,0) */
_v_add_co_u32 v4, vcc, v0, 32                      // coord0.1: coord0 += d0*sg0*VW + vc0
v_cmp_lt_u32 s[52:53], v4, s[sgprSizeI]            // coord0 < size0
v_cmp_lt_u32 s[56:57], v1, s[sgprSizeJ]            // coord1 < size1
s_and_b64 s[56:57], s[52:53], s[56:57]             // in0 && in1
_v_add_lshl_u32 v14, v2, v4, 0x0                   // scaleToBpe: accumulate d0 lower and *= bpe into Cin addr
v_cndmask_b32 v14, -1, v14, s[56:57]               // LDC clip if OOB. offset
buffer_load_ubyte v15, v14, s[sgprSrdC:sgprSrdC+3], 0, offen offset:0,  sc0 sc1 // load C for beta calc
_v_add_lshl_u32 v14, v3, v4, 0x0                   // scaleToBpe: accumulate d0 lower and *= bpe into Cin addr
v_cndmask_b32 v14, -1, v14, s[56:57]               // LDD clip if OOB. offset
/* (d1,vc1,d0,vc0)=(7,2,2,0) */
_v_add_co_u32 v4, vcc, v0, 64                      // coord0.1: coord0 += d0*sg0*VW + vc0
v_cmp_lt_u32 s[52:53], v4, s[sgprSizeI]            // coord0 < size0
v_cmp_lt_u32 s[56:57], v1, s[sgprSizeJ]            // coord1 < size1
s_and_b64 s[56:57], s[52:53], s[56:57]             // in0 && in1
_v_add_lshl_u32 v17, v2, v4, 0x0                   // scaleToBpe: accumulate d0 lower and *= bpe into Cin addr
v_cndmask_b32 v17, -1, v17, s[56:57]               // LDC clip if OOB. offset
buffer_load_ubyte v18, v17, s[sgprSrdC:sgprSrdC+3], 0, offen offset:0,  sc0 sc1 // load C for beta calc
_v_add_lshl_u32 v17, v3, v4, 0x0                   // scaleToBpe: accumulate d0 lower and *= bpe into Cin addr
v_cndmask_b32 v17, -1, v17, s[56:57]               // LDD clip if OOB. offset
/* (d1,vc1,d0,vc0)=(7,2,3,0) */
s_mov_b32 s52, 96                                  // coordOffset0 d0=3 vc0=0
_v_add_co_u32 v4, vcc, v0, s52                     // coord0.2: coord0 += d0*sg0*VW + vc0
v_cmp_lt_u32 s[52:53], v4, s[sgprSizeI]            // coord0 < size0
v_cmp_lt_u32 s[56:57], v1, s[sgprSizeJ]            // coord1 < size1
s_and_b64 s[56:57], s[52:53], s[56:57]             // in0 && in1
_v_add_lshl_u32 v20, v2, v4, 0x0                   // scaleToBpe: accumulate d0 lower and *= bpe into Cin addr
v_cndmask_b32 v20, -1, v20, s[56:57]               // LDC clip if OOB. offset
buffer_load_ubyte v21, v20, s[sgprSrdC:sgprSrdC+3], 0, offen offset:0,  sc0 sc1 // load C for beta calc
_v_add_lshl_u32 v20, v3, v4, 0x0                   // scaleToBpe: accumulate d0 lower and *= bpe into Cin addr
v_cndmask_b32 v20, -1, v20, s[56:57]               // LDD clip if OOB. offset
/* (d1,vc1,d0,vc0)=(7,2,4,0) */
s_mov_b32 s52, 128                                 // coordOffset0 d0=4 vc0=0
_v_add_co_u32 v4, vcc, v0, s52                     // coord0.2: coord0 += d0*sg0*VW + vc0
v_cmp_lt_u32 s[52:53], v4, s[sgprSizeI]            // coord0 < size0
v_cmp_lt_u32 s[56:57], v1, s[sgprSizeJ]            // coord1 < size1
s_and_b64 s[56:57], s[52:53], s[56:57]             // in0 && in1
_v_add_lshl_u32 v23, v2, v4, 0x0                   // scaleToBpe: accumulate d0 lower and *= bpe into Cin addr
v_cndmask_b32 v23, -1, v23, s[56:57]               // LDC clip if OOB. offset
buffer_load_ubyte v24, v23, s[sgprSrdC:sgprSrdC+3], 0, offen offset:0,  sc0 sc1 // load C for beta calc
_v_add_lshl_u32 v23, v3, v4, 0x0                   // scaleToBpe: accumulate d0 lower and *= bpe into Cin addr
v_cndmask_b32 v23, -1, v23, s[56:57]               // LDD clip if OOB. offset
/* (d1,vc1,d0,vc0)=(7,2,5,0) */
s_mov_b32 s52, 160                                 // coordOffset0 d0=5 vc0=0
	;; [unrolled: 11-line block ×4, first 2 shown]
_v_add_co_u32 v4, vcc, v0, s52                     // coord0.2: coord0 += d0*sg0*VW + vc0
v_cmp_lt_u32 s[52:53], v4, s[sgprSizeI]            // coord0 < size0
v_cmp_lt_u32 s[56:57], v1, s[sgprSizeJ]            // coord1 < size1
s_and_b64 s[56:57], s[52:53], s[56:57]             // in0 && in1
_v_add_lshl_u32 v32, v2, v4, 0x0                   // scaleToBpe: accumulate d0 lower and *= bpe into Cin addr
v_cndmask_b32 v32, -1, v32, s[56:57]               // LDC clip if OOB. offset
buffer_load_ubyte v33, v32, s[sgprSrdC:sgprSrdC+3], 0, offen offset:0,  sc0 sc1 // load C for beta calc
_v_add_lshl_u32 v32, v3, v4, 0x0                   // scaleToBpe: accumulate d0 lower and *= bpe into Cin addr
v_cndmask_b32 v32, -1, v32, s[56:57]               // LDD clip if OOB. offset
/* (d1,vc1,d0,vc0)=(7,3,0,0) */
_v_add_co_u32 v1, vcc, v1, 1                       // coord1.1: coord1Vgpr += d1*sg1*VW + vc1

/* Fix for UseInitialStridesCD, emitAddressSetupCode */
_v_add_u32 v2, v2, s[sgprStrideC1J]                // ROWINC- Move cinRowPtr to next row
_v_add_u32 v3, v3, s[sgprStrideD1J]                // Move coutRowPtr to next row
v_cmp_lt_u32 s[52:53], v0, s[sgprSizeI]            // coord0 < size0
v_cmp_lt_u32 s[56:57], v1, s[sgprSizeJ]            // coord1 < size1
s_and_b64 s[56:57], s[52:53], s[56:57]             // in0 && in1
_v_add_lshl_u32 v35, v2, v0, 0x0                   // scaleToBpe: accumulate d0 lower and *= bpe into Cin addr
v_cndmask_b32 v35, -1, v35, s[56:57]               // LDC clip if OOB. offset
buffer_load_ubyte v36, v35, s[sgprSrdC:sgprSrdC+3], 0, offen offset:0,  sc0 sc1 // load C for beta calc
_v_add_lshl_u32 v35, v3, v0, 0x0                   // scaleToBpe: accumulate d0 lower and *= bpe into Cin addr
v_cndmask_b32 v35, -1, v35, s[56:57]               // LDD clip if OOB. offset
/* (d1,vc1,d0,vc0)=(7,3,1,0) */
_v_add_co_u32 v4, vcc, v0, 32                      // coord0.1: coord0 += d0*sg0*VW + vc0
v_cmp_lt_u32 s[52:53], v4, s[sgprSizeI]            // coord0 < size0
v_cmp_lt_u32 s[56:57], v1, s[sgprSizeJ]            // coord1 < size1
s_and_b64 s[56:57], s[52:53], s[56:57]             // in0 && in1
_v_add_lshl_u32 v38, v2, v4, 0x0                   // scaleToBpe: accumulate d0 lower and *= bpe into Cin addr
v_cndmask_b32 v38, -1, v38, s[56:57]               // LDC clip if OOB. offset
buffer_load_ubyte v39, v38, s[sgprSrdC:sgprSrdC+3], 0, offen offset:0,  sc0 sc1 // load C for beta calc
_v_add_lshl_u32 v38, v3, v4, 0x0                   // scaleToBpe: accumulate d0 lower and *= bpe into Cin addr
v_cndmask_b32 v38, -1, v38, s[56:57]               // LDD clip if OOB. offset
/* (d1,vc1,d0,vc0)=(7,3,2,0) */
_v_add_co_u32 v4, vcc, v0, 64                      // coord0.1: coord0 += d0*sg0*VW + vc0
v_cmp_lt_u32 s[52:53], v4, s[sgprSizeI]            // coord0 < size0
v_cmp_lt_u32 s[56:57], v1, s[sgprSizeJ]            // coord1 < size1
s_and_b64 s[56:57], s[52:53], s[56:57]             // in0 && in1
_v_add_lshl_u32 v41, v2, v4, 0x0                   // scaleToBpe: accumulate d0 lower and *= bpe into Cin addr
v_cndmask_b32 v41, -1, v41, s[56:57]               // LDC clip if OOB. offset
buffer_load_ubyte v42, v41, s[sgprSrdC:sgprSrdC+3], 0, offen offset:0,  sc0 sc1 // load C for beta calc
_v_add_lshl_u32 v41, v3, v4, 0x0                   // scaleToBpe: accumulate d0 lower and *= bpe into Cin addr
v_cndmask_b32 v41, -1, v41, s[56:57]               // LDD clip if OOB. offset
/* (d1,vc1,d0,vc0)=(7,3,3,0) */
s_mov_b32 s52, 96                                  // coordOffset0 d0=3 vc0=0
_v_add_co_u32 v4, vcc, v0, s52                     // coord0.2: coord0 += d0*sg0*VW + vc0
v_cmp_lt_u32 s[52:53], v4, s[sgprSizeI]            // coord0 < size0
v_cmp_lt_u32 s[56:57], v1, s[sgprSizeJ]            // coord1 < size1
s_and_b64 s[56:57], s[52:53], s[56:57]             // in0 && in1
_v_add_lshl_u32 v44, v2, v4, 0x0                   // scaleToBpe: accumulate d0 lower and *= bpe into Cin addr
v_cndmask_b32 v44, -1, v44, s[56:57]               // LDC clip if OOB. offset
buffer_load_ubyte v45, v44, s[sgprSrdC:sgprSrdC+3], 0, offen offset:0,  sc0 sc1 // load C for beta calc
_v_add_lshl_u32 v44, v3, v4, 0x0                   // scaleToBpe: accumulate d0 lower and *= bpe into Cin addr
v_cndmask_b32 v44, -1, v44, s[56:57]               // LDD clip if OOB. offset
/* (d1,vc1,d0,vc0)=(7,3,4,0) */
s_mov_b32 s52, 128                                 // coordOffset0 d0=4 vc0=0
_v_add_co_u32 v4, vcc, v0, s52                     // coord0.2: coord0 += d0*sg0*VW + vc0
v_cmp_lt_u32 s[52:53], v4, s[sgprSizeI]            // coord0 < size0
v_cmp_lt_u32 s[56:57], v1, s[sgprSizeJ]            // coord1 < size1
s_and_b64 s[56:57], s[52:53], s[56:57]             // in0 && in1
_v_add_lshl_u32 v47, v2, v4, 0x0                   // scaleToBpe: accumulate d0 lower and *= bpe into Cin addr
v_cndmask_b32 v47, -1, v47, s[56:57]               // LDC clip if OOB. offset
buffer_load_ubyte v48, v47, s[sgprSrdC:sgprSrdC+3], 0, offen offset:0,  sc0 sc1 // load C for beta calc
_v_add_lshl_u32 v47, v3, v4, 0x0                   // scaleToBpe: accumulate d0 lower and *= bpe into Cin addr
v_cndmask_b32 v47, -1, v47, s[56:57]               // LDD clip if OOB. offset
/* (d1,vc1,d0,vc0)=(7,3,5,0) */
s_mov_b32 s52, 160                                 // coordOffset0 d0=5 vc0=0
	;; [unrolled: 11-line block ×4, first 2 shown]
_v_add_co_u32 v4, vcc, v0, s52                     // coord0.2: coord0 += d0*sg0*VW + vc0
v_cmp_lt_u32 s[52:53], v4, s[sgprSizeI]            // coord0 < size0
v_cmp_lt_u32 s[56:57], v1, s[sgprSizeJ]            // coord1 < size1
s_and_b64 s[56:57], s[52:53], s[56:57]             // in0 && in1
_v_add_lshl_u32 v56, v2, v4, 0x0                   // scaleToBpe: accumulate d0 lower and *= bpe into Cin addr
v_cndmask_b32 v56, -1, v56, s[56:57]               // LDC clip if OOB. offset
buffer_load_ubyte v57, v56, s[sgprSrdC:sgprSrdC+3], 0, offen offset:0,  sc0 sc1 // load C for beta calc
_v_add_lshl_u32 v56, v3, v4, 0x0                   // scaleToBpe: accumulate d0 lower and *= bpe into Cin addr
v_cndmask_b32 v56, -1, v56, s[56:57]               // LDD clip if OOB. offset
s_sleep 3 // optimization: sync and wait
s_barrier
v_accvgpr_read_b32 v[vgprValuC+13], acc142 // copy acc to vreg[240]
v_accvgpr_read_b32 v[vgprValuC+16], acc158 // copy acc to vreg[241]
v_accvgpr_read_b32 v[vgprValuC+19], acc174 // copy acc to vreg[242]
v_accvgpr_read_b32 v[vgprValuC+22], acc190 // copy acc to vreg[243]
v_accvgpr_read_b32 v[vgprValuC+25], acc206 // copy acc to vreg[244]
v_accvgpr_read_b32 v[vgprValuC+28], acc222 // copy acc to vreg[245]
v_accvgpr_read_b32 v[vgprValuC+31], acc238 // copy acc to vreg[246]
v_accvgpr_read_b32 v[vgprValuC+34], acc254 // copy acc to vreg[247]
v_accvgpr_read_b32 v[vgprValuC+37], acc143 // copy acc to vreg[248]
v_accvgpr_read_b32 v[vgprValuC+40], acc159 // copy acc to vreg[249]
v_accvgpr_read_b32 v[vgprValuC+43], acc175 // copy acc to vreg[250]
v_accvgpr_read_b32 v[vgprValuC+46], acc191 // copy acc to vreg[251]
v_accvgpr_read_b32 v[vgprValuC+49], acc207 // copy acc to vreg[252]
v_accvgpr_read_b32 v[vgprValuC+52], acc223 // copy acc to vreg[253]
v_accvgpr_read_b32 v[vgprValuC+55], acc239 // copy acc to vreg[254]
v_accvgpr_read_b32 v[vgprValuC+58], acc255 // copy acc to vreg[255]
s_nop 1                                            // 2 wait states required before reading vgpr

/* rC *= alpha batchElements=[(7, 0, 2, 0), (7, 1, 2, 0), (7, 2, 2, 0), (7, 3, 2, 0), (7, 4, 2, 0), (7, 5, 2, 0), (7, 6, 2, 0), (7, 7, 2, 0), (7, 0, 3, 0), (7, 1, 3, 0), (7, 2, 3, 0), (7, 3, 3, 0), (7, 4, 3, 0), (7, 5, 3, 0), (7, 6, 3, 0), (7, 7, 3, 0)] */
v_mul_f32 v[vgprValuC+13], s[sgprAlpha], v[vgprValuC+13] // *= alpha
v_mul_f32 v[vgprValuC+16], s[sgprAlpha], v[vgprValuC+16] // *= alpha
	;; [unrolled: 1-line block ×16, first 2 shown]
s_waitcnt vmcnt(0)                                 // wait C

/* apply mask, calc new C and issue writes */
v_mov_b32 v10, 0x207                               // flag for Nan and +/- inf
v_mov_b32 v8, 0x47600000                           // save 57344.0f as max for clipping
v_mov_b32 v9, 0xC7600000                           // save -57344`.0f as min for clipping
v_cvt_f32_bf8 v6, v12 src0_sel:BYTE_0   // convert bf8 in lo_byte[0] to f32
_v_mac_f32 v[vgprValuC+13], v6, s[sgprBeta]        // finalSum = sum*alpha + C*beta
v_cmp_class_f32 s[52:53], v[vgprValuC+13], v10     // check NaN and +/-INF
v_med3_f32 v6, v[vgprValuC+13], v8, v9             // Clipping f32 value if exceeds the limit
v_cndmask_b32 v6, v6, v[vgprValuC+13], s[52:53]    // 
v_cvt_pk_bf8_f32  v13, v6, v6                      // convert f32 accumulated values to fp8
buffer_store_byte v13, v11, s[sgprSrdD:sgprSrdD+3], 0, offen, offset:0,  sc0 sc1 // store D
v_cvt_f32_bf8 v6, v15 src0_sel:BYTE_0   // convert bf8 in lo_byte[0] to f32
_v_mac_f32 v[vgprValuC+16], v6, s[sgprBeta]        // finalSum = sum*alpha + C*beta
v_cmp_class_f32 s[52:53], v[vgprValuC+16], v10     // check NaN and +/-INF
v_med3_f32 v6, v[vgprValuC+16], v8, v9             // Clipping f32 value if exceeds the limit
v_cndmask_b32 v6, v6, v[vgprValuC+16], s[52:53]    // 
v_cvt_pk_bf8_f32  v16, v6, v6                      // convert f32 accumulated values to fp8
buffer_store_byte v16, v14, s[sgprSrdD:sgprSrdD+3], 0, offen, offset:0,  sc0 sc1 // store D
	;; [unrolled: 7-line block ×16, first 2 shown]
s_nop 0                                            // 1 wait state required when next inst writes vgprs held by previous dwordx4 store inst
s_branch label_GW_End_42                           // jump to end
label_GW_End_42:

label_0047:  /// KernelEnd
s_endpgm                                           // Kernel End

